;; amdgpu-corpus repo=ROCm/rocFFT kind=compiled arch=gfx1030 opt=O3
	.text
	.amdgcn_target "amdgcn-amd-amdhsa--gfx1030"
	.amdhsa_code_object_version 6
	.protected	bluestein_single_fwd_len1170_dim1_half_op_CI_CI ; -- Begin function bluestein_single_fwd_len1170_dim1_half_op_CI_CI
	.globl	bluestein_single_fwd_len1170_dim1_half_op_CI_CI
	.p2align	8
	.type	bluestein_single_fwd_len1170_dim1_half_op_CI_CI,@function
bluestein_single_fwd_len1170_dim1_half_op_CI_CI: ; @bluestein_single_fwd_len1170_dim1_half_op_CI_CI
; %bb.0:
	s_load_dwordx4 s[12:15], s[4:5], 0x28
	v_mul_u32_u24_e32 v1, 0x231, v0
	v_mov_b32_e32 v21, 0
	s_mov_b32 s0, exec_lo
	v_lshrrev_b32_e32 v1, 16, v1
	v_add_nc_u32_e32 v20, s6, v1
	s_waitcnt lgkmcnt(0)
	v_cmpx_gt_u64_e64 s[12:13], v[20:21]
	s_cbranch_execz .LBB0_26
; %bb.1:
	s_clause 0x1
	s_load_dwordx4 s[0:3], s[4:5], 0x18
	s_load_dwordx4 s[8:11], s[4:5], 0x0
	v_mul_lo_u16 v1, 0x75, v1
                                        ; implicit-def: $vgpr33
                                        ; implicit-def: $vgpr45
                                        ; implicit-def: $vgpr44
                                        ; implicit-def: $vgpr62
	v_sub_nc_u16 v8, v0, v1
	v_and_b32_e32 v58, 0xffff, v8
	v_lshlrev_b32_e32 v51, 2, v58
	v_lshlrev_b32_e32 v66, 3, v58
	s_waitcnt lgkmcnt(0)
	s_load_dwordx4 s[16:19], s[0:1], 0x0
	v_add_co_u32 v9, s0, s8, v51
	v_add_co_ci_u32_e64 v10, null, s9, 0, s0
	s_waitcnt lgkmcnt(0)
	v_mad_u64_u32 v[0:1], null, s18, v20, 0
	v_mad_u64_u32 v[2:3], null, s16, v58, 0
	s_mul_i32 s0, s17, 0x924
	s_mul_hi_u32 s1, s16, 0x924
	s_mul_i32 s6, s16, 0x924
	s_add_i32 s1, s1, s0
	s_mul_hi_u32 s12, s16, 0xfffff8b0
	s_mul_i32 s7, s17, 0xfffff8b0
	v_mad_u64_u32 v[4:5], null, s19, v20, v[1:2]
	s_mul_i32 s13, s16, 0xfffff8b0
	s_sub_i32 s0, s12, s16
	s_add_i32 s0, s0, s7
	v_mad_u64_u32 v[5:6], null, s17, v58, v[3:4]
	v_mov_b32_e32 v1, v4
	v_add_co_u32 v6, vcc_lo, 0x800, v9
	v_add_co_ci_u32_e32 v7, vcc_lo, 0, v10, vcc_lo
	v_lshlrev_b64 v[0:1], 2, v[0:1]
	v_mov_b32_e32 v3, v5
	s_clause 0x5
	global_load_dword v59, v51, s[8:9]
	global_load_dword v57, v51, s[8:9] offset:468
	global_load_dword v55, v51, s[8:9] offset:936
	global_load_dword v60, v[6:7], off offset:292
	global_load_dword v56, v[6:7], off offset:760
	;; [unrolled: 1-line block ×3, first 2 shown]
	v_lshlrev_b64 v[2:3], 2, v[2:3]
	v_add_co_u32 v0, vcc_lo, s14, v0
	v_add_co_ci_u32_e32 v1, vcc_lo, s15, v1, vcc_lo
	v_add_co_u32 v0, vcc_lo, v0, v2
	v_add_co_ci_u32_e32 v1, vcc_lo, v1, v3, vcc_lo
	global_load_dword v11, v[0:1], off
	v_add_co_u32 v0, vcc_lo, v0, s6
	v_add_co_ci_u32_e32 v1, vcc_lo, s1, v1, vcc_lo
	v_add_co_u32 v2, vcc_lo, v0, s13
	v_add_co_ci_u32_e32 v3, vcc_lo, s0, v1, vcc_lo
	s_clause 0x1
	global_load_dword v12, v[0:1], off
	global_load_dword v13, v[2:3], off
	v_add_co_u32 v0, vcc_lo, v2, s6
	v_add_co_ci_u32_e32 v1, vcc_lo, s1, v3, vcc_lo
	v_add_co_u32 v2, vcc_lo, v0, s13
	v_add_co_ci_u32_e32 v3, vcc_lo, s0, v1, vcc_lo
	s_clause 0x1
	global_load_dword v14, v[0:1], off
	global_load_dword v15, v[2:3], off
	v_add_co_u32 v0, vcc_lo, v2, s6
	v_add_co_ci_u32_e32 v1, vcc_lo, s1, v3, vcc_lo
	v_add_co_u32 v2, vcc_lo, v0, s13
	v_add_co_ci_u32_e32 v3, vcc_lo, s0, v1, vcc_lo
	global_load_dword v16, v[0:1], off
	v_add_co_u32 v4, vcc_lo, v2, s6
	v_add_co_ci_u32_e32 v5, vcc_lo, s1, v3, vcc_lo
	v_add_co_u32 v0, vcc_lo, v4, s13
	v_add_co_ci_u32_e32 v1, vcc_lo, s0, v5, vcc_lo
	global_load_dword v17, v[2:3], off
	s_clause 0x1
	global_load_dword v53, v51, s[8:9] offset:1404
	global_load_dword v52, v[6:7], off offset:1696
	global_load_dword v4, v[4:5], off
	global_load_dword v5, v[0:1], off
	v_add_co_u32 v0, vcc_lo, v0, s6
	v_add_co_ci_u32_e32 v1, vcc_lo, s1, v1, vcc_lo
	v_add_co_u32 v2, vcc_lo, 0x1000, v9
	v_add_co_ci_u32_e32 v3, vcc_lo, 0, v10, vcc_lo
	global_load_dword v6, v[0:1], off
	s_clause 0x1
	global_load_dword v50, v51, s[8:9] offset:1872
	global_load_dword v49, v[2:3], off offset:116
	v_cmp_gt_u16_e64 s0, 0x5a, v8
	v_add_nc_u32_e32 v0, 0xa00, v51
	v_add_nc_u32_e32 v9, 0x600, v51
	;; [unrolled: 1-line block ×4, first 2 shown]
	s_load_dwordx2 s[12:13], s[4:5], 0x38
	s_load_dwordx4 s[4:7], s[2:3], 0x0
	v_add_co_u32 v31, s1, 0x75, v58
	v_lshlrev_b32_e32 v65, 3, v31
	s_waitcnt vmcnt(13)
	v_lshrrev_b32_e32 v2, 16, v11
	v_mul_f16_sdwa v3, v59, v11 dst_sel:DWORD dst_unused:UNUSED_PAD src0_sel:WORD_1 src1_sel:DWORD
	v_mul_f16_sdwa v7, v59, v2 dst_sel:DWORD dst_unused:UNUSED_PAD src0_sel:WORD_1 src1_sel:DWORD
	v_fma_f16 v2, v59, v2, -v3
	s_waitcnt vmcnt(12)
	v_lshrrev_b32_e32 v8, 16, v12
	v_mul_f16_sdwa v18, v60, v12 dst_sel:DWORD dst_unused:UNUSED_PAD src0_sel:WORD_1 src1_sel:DWORD
	v_fmac_f16_e32 v7, v59, v11
	s_waitcnt vmcnt(11)
	v_lshrrev_b32_e32 v11, 16, v13
	v_mul_f16_sdwa v3, v60, v8 dst_sel:DWORD dst_unused:UNUSED_PAD src0_sel:WORD_1 src1_sel:DWORD
	v_fma_f16 v8, v60, v8, -v18
	v_mul_f16_sdwa v18, v57, v13 dst_sel:DWORD dst_unused:UNUSED_PAD src0_sel:WORD_1 src1_sel:DWORD
	v_pack_b32_f16 v2, v7, v2
	v_mul_f16_sdwa v7, v57, v11 dst_sel:DWORD dst_unused:UNUSED_PAD src0_sel:WORD_1 src1_sel:DWORD
	v_fmac_f16_e32 v3, v60, v12
	v_fma_f16 v11, v57, v11, -v18
	s_waitcnt vmcnt(10)
	v_lshrrev_b32_e32 v12, 16, v14
	v_mul_f16_sdwa v19, v56, v14 dst_sel:DWORD dst_unused:UNUSED_PAD src0_sel:WORD_1 src1_sel:DWORD
	v_pack_b32_f16 v3, v3, v8
	v_fmac_f16_e32 v7, v57, v13
	s_waitcnt vmcnt(9)
	v_lshrrev_b32_e32 v13, 16, v15
	v_mul_f16_sdwa v8, v56, v12 dst_sel:DWORD dst_unused:UNUSED_PAD src0_sel:WORD_1 src1_sel:DWORD
	v_fma_f16 v12, v56, v12, -v19
	v_mul_f16_sdwa v18, v55, v15 dst_sel:DWORD dst_unused:UNUSED_PAD src0_sel:WORD_1 src1_sel:DWORD
	ds_write_b32 v51, v3 offset:2340
	v_pack_b32_f16 v3, v7, v11
	v_fmac_f16_e32 v8, v56, v14
	v_mul_f16_sdwa v7, v55, v13 dst_sel:DWORD dst_unused:UNUSED_PAD src0_sel:WORD_1 src1_sel:DWORD
	v_fma_f16 v11, v55, v13, -v18
	s_waitcnt vmcnt(8)
	v_lshrrev_b32_e32 v13, 16, v16
	v_mul_f16_sdwa v14, v54, v16 dst_sel:DWORD dst_unused:UNUSED_PAD src0_sel:WORD_1 src1_sel:DWORD
	v_pack_b32_f16 v8, v8, v12
	v_fmac_f16_e32 v7, v55, v15
	v_mul_f16_sdwa v15, v54, v13 dst_sel:DWORD dst_unused:UNUSED_PAD src0_sel:WORD_1 src1_sel:DWORD
	s_waitcnt vmcnt(7)
	v_lshrrev_b32_e32 v12, 16, v17
	v_fma_f16 v13, v54, v13, -v14
	s_waitcnt vmcnt(6)
	v_mul_f16_sdwa v14, v53, v17 dst_sel:DWORD dst_unused:UNUSED_PAD src0_sel:WORD_1 src1_sel:DWORD
	v_pack_b32_f16 v7, v7, v11
	v_fmac_f16_e32 v15, v54, v16
	v_mul_f16_sdwa v11, v53, v12 dst_sel:DWORD dst_unused:UNUSED_PAD src0_sel:WORD_1 src1_sel:DWORD
	s_waitcnt vmcnt(4)
	v_lshrrev_b32_e32 v16, 16, v4
	v_fma_f16 v12, v53, v12, -v14
	v_mul_f16_sdwa v14, v52, v4 dst_sel:DWORD dst_unused:UNUSED_PAD src0_sel:WORD_1 src1_sel:DWORD
	v_fmac_f16_e32 v11, v53, v17
	s_waitcnt vmcnt(3)
	v_lshrrev_b32_e32 v17, 16, v5
	s_waitcnt vmcnt(2)
	v_lshrrev_b32_e32 v19, 16, v6
	v_mul_f16_sdwa v18, v52, v16 dst_sel:DWORD dst_unused:UNUSED_PAD src0_sel:WORD_1 src1_sel:DWORD
	v_fma_f16 v14, v52, v16, -v14
	s_waitcnt vmcnt(1)
	v_mul_f16_sdwa v16, v50, v5 dst_sel:DWORD dst_unused:UNUSED_PAD src0_sel:WORD_1 src1_sel:DWORD
	v_mul_f16_sdwa v21, v50, v17 dst_sel:DWORD dst_unused:UNUSED_PAD src0_sel:WORD_1 src1_sel:DWORD
	s_waitcnt vmcnt(0)
	v_mul_f16_sdwa v22, v49, v6 dst_sel:DWORD dst_unused:UNUSED_PAD src0_sel:WORD_1 src1_sel:DWORD
	v_mul_f16_sdwa v23, v49, v19 dst_sel:DWORD dst_unused:UNUSED_PAD src0_sel:WORD_1 src1_sel:DWORD
	v_fmac_f16_e32 v18, v52, v4
	v_fma_f16 v4, v50, v17, -v16
	v_fmac_f16_e32 v21, v50, v5
	v_fma_f16 v5, v49, v19, -v22
	v_fmac_f16_e32 v23, v49, v6
	v_pack_b32_f16 v6, v15, v13
	v_pack_b32_f16 v11, v11, v12
	;; [unrolled: 1-line block ×5, first 2 shown]
	ds_write2_b32 v51, v2, v3 offset1:117
	ds_write2_b32 v0, v8, v6 offset0:62 offset1:179
	ds_write2_b32 v1, v7, v11 offset0:106 offset1:223
	ds_write_b32 v51, v4 offset:1872
	ds_write2_b32 v10, v12, v5 offset0:40 offset1:157
	s_waitcnt lgkmcnt(0)
	s_barrier
	buffer_gl0_inv
	ds_read2_b32 v[2:3], v51 offset1:117
	ds_read2_b32 v[4:5], v9 offset0:84 offset1:201
	ds_read2_b32 v[6:7], v0 offset0:62 offset1:179
	;; [unrolled: 1-line block ×4, first 2 shown]
	v_add_co_ci_u32_e64 v12, null, 0, 0, s1
	v_add_co_u32 v25, s1, 0xea, v58
	v_add_co_ci_u32_e64 v12, null, 0, 0, s1
	v_add_co_u32 v29, s1, 0x15f, v58
	v_add_co_ci_u32_e64 v30, null, 0, 0, s1
	v_lshlrev_b32_e32 v64, 3, v25
	v_lshlrev_b32_e32 v63, 3, v29
	s_waitcnt lgkmcnt(0)
	s_barrier
	buffer_gl0_inv
                                        ; implicit-def: $vgpr23
	v_pk_add_f16 v13, v2, v5 neg_lo:[0,1] neg_hi:[0,1]
	v_pk_add_f16 v22, v3, v6 neg_lo:[0,1] neg_hi:[0,1]
	;; [unrolled: 1-line block ×5, first 2 shown]
	v_pk_fma_f16 v12, v2, 2.0, v13 op_sel_hi:[1,0,1] neg_lo:[0,0,1] neg_hi:[0,0,1]
	v_pk_fma_f16 v21, v3, 2.0, v22 op_sel_hi:[1,0,1] neg_lo:[0,0,1] neg_hi:[0,0,1]
	;; [unrolled: 1-line block ×5, first 2 shown]
	v_lshrrev_b32_e32 v26, 16, v12
	v_lshrrev_b32_e32 v48, 16, v21
	;; [unrolled: 1-line block ×5, first 2 shown]
	ds_write_b64 v66, v[12:13]
	ds_write_b64 v65, v[21:22]
	;; [unrolled: 1-line block ×4, first 2 shown]
	ds_write_b64 v66, v[14:15] offset:3744
	s_waitcnt lgkmcnt(0)
	s_barrier
	buffer_gl0_inv
	s_and_saveexec_b32 s1, s0
	s_cbranch_execz .LBB0_3
; %bb.2:
	v_add_nc_u32_e32 v2, 0x400, v51
	v_add_nc_u32_e32 v3, 0x800, v51
	v_add_nc_u32_e32 v4, 0xc00, v51
	ds_read2_b32 v[12:13], v51 offset1:90
	ds_read2_b32 v[21:22], v1 offset0:52 offset1:142
	ds_read2_b32 v[14:15], v0 offset0:80 offset1:170
	;; [unrolled: 1-line block ×5, first 2 shown]
	ds_read_b32 v44, v51 offset:4320
	s_waitcnt lgkmcnt(5)
	v_lshrrev_b32_e32 v48, 16, v21
	s_waitcnt lgkmcnt(4)
	v_lshrrev_b32_e32 v32, 16, v14
	;; [unrolled: 2-line block ×4, first 2 shown]
	v_lshrrev_b32_e32 v26, 16, v12
	s_waitcnt lgkmcnt(1)
	v_lshrrev_b32_e32 v33, 16, v23
	v_lshrrev_b32_e32 v45, 16, v24
	s_waitcnt lgkmcnt(0)
	v_lshrrev_b32_e32 v62, 16, v44
.LBB0_3:
	s_or_b32 exec_lo, exec_lo, s1
	v_and_b32_e32 v61, 1, v58
	v_lshrrev_b32_e32 v68, 16, v13
	v_lshrrev_b32_e32 v70, 16, v19
	;; [unrolled: 1-line block ×4, first 2 shown]
	v_mul_u32_u24_e32 v0, 12, v61
	v_lshrrev_b32_e32 v71, 16, v17
	v_lshlrev_b32_e32 v0, 2, v0
	s_clause 0x2
	global_load_dwordx4 v[8:11], v0, s[10:11]
	global_load_dwordx4 v[4:7], v0, s[10:11] offset:16
	global_load_dwordx4 v[0:3], v0, s[10:11] offset:32
	s_waitcnt vmcnt(0)
	s_barrier
	buffer_gl0_inv
	v_mul_f16_sdwa v73, v68, v8 dst_sel:DWORD dst_unused:UNUSED_PAD src0_sel:DWORD src1_sel:WORD_1
	v_mul_f16_sdwa v43, v13, v8 dst_sel:DWORD dst_unused:UNUSED_PAD src0_sel:DWORD src1_sel:WORD_1
	;; [unrolled: 1-line block ×11, first 2 shown]
	v_fmac_f16_e32 v43, v68, v8
	v_fma_f16 v68, v13, v8, -v73
	v_fma_f16 v13, v44, v3, -v83
	v_fmac_f16_e32 v36, v62, v3
	v_mul_f16_sdwa v74, v69, v10 dst_sel:DWORD dst_unused:UNUSED_PAD src0_sel:DWORD src1_sel:WORD_1
	v_mul_f16_sdwa v41, v22, v10 dst_sel:DWORD dst_unused:UNUSED_PAD src0_sel:DWORD src1_sel:WORD_1
	;; [unrolled: 1-line block ×10, first 2 shown]
	v_fma_f16 v67, v21, v9, -v67
	v_fmac_f16_e32 v42, v48, v9
	v_fma_f16 v21, v19, v4, -v76
	v_fma_f16 v19, v16, v5, -v77
	;; [unrolled: 1-line block ×4, first 2 shown]
	v_fmac_f16_e32 v34, v45, v2
	v_sub_f16_e32 v110, v43, v36
	v_sub_f16_e32 v83, v68, v13
	v_mul_f16_sdwa v40, v18, v11 dst_sel:DWORD dst_unused:UNUSED_PAD src0_sel:DWORD src1_sel:WORD_1
	v_mul_f16_sdwa v37, v17, v6 dst_sel:DWORD dst_unused:UNUSED_PAD src0_sel:DWORD src1_sel:WORD_1
	;; [unrolled: 1-line block ×3, first 2 shown]
	v_fma_f16 v22, v22, v10, -v74
	v_fmac_f16_e32 v41, v69, v10
	v_fma_f16 v48, v18, v11, -v75
	v_fma_f16 v18, v17, v6, -v78
	;; [unrolled: 1-line block ×4, first 2 shown]
	v_fmac_f16_e32 v28, v33, v1
	v_add_f16_e32 v75, v68, v13
	v_add_f16_e32 v97, v43, v36
	v_sub_f16_e32 v123, v42, v34
	v_sub_f16_e32 v88, v67, v15
	v_mul_f16_e32 v24, 0xb770, v110
	v_mul_f16_e32 v76, 0xb770, v83
	v_mul_f16_e32 v92, 0xba95, v110
	v_mul_f16_e32 v100, 0xba95, v83
	v_mul_f16_e32 v108, 0xbbf1, v110
	v_mul_f16_e32 v120, 0xbbf1, v83
	v_mul_f16_e32 v129, 0xbb7b, v110
	v_mul_f16_e32 v136, 0xbb7b, v83
	v_fmac_f16_e32 v40, v47, v11
	v_fmac_f16_e32 v35, v32, v7
	;; [unrolled: 1-line block ×3, first 2 shown]
	v_add_f16_e32 v82, v67, v15
	v_add_f16_e32 v90, v42, v34
	v_sub_f16_e32 v137, v41, v28
	v_sub_f16_e32 v101, v22, v14
	v_mul_f16_e32 v23, 0xba95, v123
	v_mul_f16_e32 v69, 0xba95, v88
	;; [unrolled: 1-line block ×8, first 2 shown]
	v_fmamk_f16 v32, v75, 0x3b15, v24
	v_fma_f16 v33, v97, 0x3b15, -v76
	v_fmamk_f16 v45, v75, 0x388b, v92
	v_fma_f16 v62, v97, 0x388b, -v100
	;; [unrolled: 2-line block ×4, first 2 shown]
	v_fmac_f16_e32 v39, v70, v4
	v_fmac_f16_e32 v38, v46, v5
	v_add_f16_e32 v94, v22, v14
	v_add_f16_e32 v107, v41, v28
	v_sub_f16_e32 v138, v40, v27
	v_sub_f16_e32 v111, v48, v16
	v_mul_f16_e32 v70, 0xbbf1, v137
	v_mul_f16_e32 v78, 0xbbf1, v101
	;; [unrolled: 1-line block ×8, first 2 shown]
	v_fmamk_f16 v44, v82, 0x388b, v23
	v_fma_f16 v46, v90, 0x388b, -v69
	v_fmamk_f16 v47, v82, 0xb5ac, v91
	v_fma_f16 v73, v90, 0xb5ac, -v98
	;; [unrolled: 2-line block ×4, first 2 shown]
	v_add_f16_e32 v32, v12, v32
	v_add_f16_e32 v33, v26, v33
	;; [unrolled: 1-line block ×8, first 2 shown]
	v_fmac_f16_e32 v37, v71, v6
	v_add_f16_e32 v105, v48, v16
	v_add_f16_e32 v109, v40, v27
	v_sub_f16_e32 v139, v39, v35
	v_sub_f16_e32 v127, v21, v17
	v_mul_f16_e32 v72, 0xbb7b, v138
	v_mul_f16_e32 v79, 0xbb7b, v111
	;; [unrolled: 1-line block ×8, first 2 shown]
	v_fmamk_f16 v148, v94, 0x2fb7, v70
	v_fma_f16 v149, v107, 0x2fb7, -v78
	v_fmamk_f16 v150, v94, 0xbbc4, v93
	v_fma_f16 v151, v107, 0xbbc4, -v95
	;; [unrolled: 2-line block ×4, first 2 shown]
	v_add_f16_e32 v32, v44, v32
	v_add_f16_e32 v33, v46, v33
	;; [unrolled: 1-line block ×10, first 2 shown]
	v_sub_f16_e32 v140, v38, v37
	v_sub_f16_e32 v132, v19, v18
	v_mul_f16_e32 v77, 0xb94e, v139
	v_mul_f16_e32 v80, 0xb94e, v127
	v_mul_f16_e32 v84, 0x3bf1, v139
	v_mul_f16_e32 v99, 0x3bf1, v127
	v_mul_f16_e32 v103, 0xba95, v139
	v_mul_f16_e32 v117, 0xba95, v127
	v_mul_f16_e32 v122, 0x33a8, v139
	v_mul_f16_e32 v131, 0x33a8, v127
	v_fmamk_f16 v156, v105, 0xb5ac, v72
	v_fma_f16 v157, v109, 0xb5ac, -v79
	v_fmamk_f16 v158, v105, 0xb9fd, v86
	v_fma_f16 v159, v109, 0xb9fd, -v96
	;; [unrolled: 2-line block ×4, first 2 shown]
	v_add_f16_e32 v32, v148, v32
	v_add_f16_e32 v33, v149, v33
	;; [unrolled: 1-line block ×10, first 2 shown]
	v_mul_f16_e32 v71, 0xb3a8, v140
	v_mul_f16_e32 v81, 0xb3a8, v132
	;; [unrolled: 1-line block ×8, first 2 shown]
	v_fmamk_f16 v164, v112, 0xb9fd, v77
	v_fma_f16 v165, v116, 0xb9fd, -v80
	v_fmamk_f16 v166, v112, 0x2fb7, v84
	v_fma_f16 v167, v116, 0x2fb7, -v99
	;; [unrolled: 2-line block ×4, first 2 shown]
	v_add_f16_e32 v32, v156, v32
	v_add_f16_e32 v33, v157, v33
	;; [unrolled: 1-line block ×8, first 2 shown]
	v_fmamk_f16 v172, v114, 0xbbc4, v71
	v_fma_f16 v173, v128, 0xbbc4, -v81
	v_fmamk_f16 v174, v114, 0x3b15, v85
	v_fma_f16 v175, v128, 0x3b15, -v89
	;; [unrolled: 2-line block ×4, first 2 shown]
	v_add_f16_e32 v32, v164, v32
	v_add_f16_e32 v33, v165, v33
	v_add_f16_e32 v44, v166, v44
	v_add_f16_e32 v141, v167, v45
	v_add_f16_e32 v142, v168, v46
	v_add_f16_e32 v47, v169, v47
	v_add_f16_e32 v62, v170, v62
	v_add_f16_e32 v143, v171, v73
	v_add_f16_e32 v73, v172, v32
	v_add_f16_e32 v74, v173, v33
	v_add_f16_e32 v45, v174, v44
	v_add_f16_e32 v46, v175, v141
	v_add_f16_e32 v44, v176, v142
	v_add_f16_e32 v47, v177, v47
	v_add_f16_e32 v32, v178, v62
	v_add_f16_e32 v33, v179, v143
	v_lshrrev_b32_e32 v62, 1, v58
	s_and_saveexec_b32 s1, s0
	s_cbranch_execz .LBB0_5
; %bb.4:
	v_mul_f16_e32 v141, 0xb9fd, v97
	v_mul_f16_e32 v145, 0x2fb7, v90
	;; [unrolled: 1-line block ×5, first 2 shown]
	v_fmamk_f16 v146, v83, 0x394e, v141
	v_fmamk_f16 v150, v88, 0xbbf1, v145
	;; [unrolled: 1-line block ×3, first 2 shown]
	v_mul_f16_e32 v155, 0x3bf1, v123
	v_fmamk_f16 v156, v75, 0xb9fd, v153
	v_add_f16_e32 v146, v26, v146
	v_fmamk_f16 v157, v111, 0xb3a8, v152
	v_mul_f16_e32 v161, 0xbbc4, v97
	v_fmamk_f16 v158, v82, 0x2fb7, v155
	v_add_f16_e32 v156, v12, v156
	v_add_f16_e32 v146, v150, v146
	v_mul_f16_e32 v150, 0x3b15, v116
	v_mul_f16_e32 v162, 0x3770, v139
	;; [unrolled: 1-line block ×3, first 2 shown]
	v_add_f16_e32 v156, v158, v156
	v_add_f16_e32 v146, v154, v146
	v_mul_f16_e32 v154, 0xba95, v137
	v_fmamk_f16 v159, v127, 0xb770, v150
	v_mul_f16_e32 v158, 0x33a8, v138
	v_mul_f16_e32 v164, 0xbb7b, v140
	v_add_f16_e32 v146, v157, v146
	v_mul_f16_e32 v157, 0xb5ac, v128
	v_fmamk_f16 v160, v94, 0x388b, v154
	v_fmamk_f16 v165, v88, 0xb770, v163
	v_mul_f16_e32 v166, 0xb9fd, v107
	v_add_f16_e32 v146, v159, v146
	v_fmamk_f16 v159, v132, 0x3b7b, v157
	v_add_f16_e32 v156, v160, v156
	v_fmamk_f16 v160, v105, 0xbbc4, v158
	v_mul_f16_e32 v110, 0xb3a8, v110
	v_mul_f16_e32 v167, 0x388b, v109
	v_add_f16_e32 v146, v159, v146
	v_fmamk_f16 v159, v83, 0x33a8, v161
	v_add_f16_e32 v156, v160, v156
	v_fmamk_f16 v160, v112, 0x3b15, v162
	v_mul_f16_e32 v123, 0x3770, v123
	v_mul_f16_e32 v168, 0xb5ac, v116
	v_add_f16_e32 v159, v26, v159
	v_mul_f16_e32 v137, 0xb94e, v137
	v_add_f16_e32 v156, v160, v156
	v_fmamk_f16 v160, v114, 0xb5ac, v164
	v_fmamk_f16 v169, v82, 0x3b15, v123
	v_add_f16_e32 v159, v165, v159
	v_fmamk_f16 v165, v101, 0x394e, v166
	v_mul_f16_e32 v170, 0x2fb7, v128
	v_add_f16_e32 v156, v160, v156
	v_fmamk_f16 v160, v75, 0xbbc4, v110
	v_mul_f16_e32 v138, 0x3a95, v138
	v_add_f16_e32 v159, v165, v159
	v_fmamk_f16 v165, v111, 0xba95, v167
	v_fmac_f16_e32 v161, 0xb3a8, v83
	v_add_f16_e32 v160, v12, v160
	v_mul_f16_e32 v139, 0xbb7b, v139
	v_fmac_f16_e32 v163, 0x3770, v88
	v_add_f16_e32 v159, v165, v159
	v_fmamk_f16 v165, v127, 0x3b7b, v168
	v_add_f16_e32 v160, v169, v160
	v_fmamk_f16 v169, v94, 0xb9fd, v137
	v_add_f16_e32 v161, v26, v161
	v_fma_f16 v110, v75, 0xbbc4, -v110
	v_add_f16_e32 v159, v165, v159
	v_fmamk_f16 v165, v132, 0xbbf1, v170
	v_add_f16_e32 v160, v169, v160
	v_fmamk_f16 v169, v105, 0x388b, v138
	v_mul_f16_e32 v140, 0x3bf1, v140
	v_add_f16_e32 v161, v163, v161
	v_add_f16_e32 v159, v165, v159
	v_fmamk_f16 v165, v112, 0xb5ac, v139
	v_add_f16_e32 v160, v169, v160
	v_fmac_f16_e32 v166, 0xb94e, v101
	v_add_f16_e32 v110, v12, v110
	v_fma_f16 v123, v82, 0x3b15, -v123
	v_mul_f16_e32 v144, 0x388b, v75
	v_add_f16_e32 v160, v165, v160
	v_fmamk_f16 v165, v114, 0x2fb7, v140
	v_add_f16_e32 v161, v166, v161
	v_fmac_f16_e32 v167, 0x3a95, v111
	v_add_f16_e32 v110, v123, v110
	v_fma_f16 v123, v94, 0xb9fd, -v137
	v_fmac_f16_e32 v141, 0xb94e, v83
	v_mul_f16_e32 v142, 0x3b15, v75
	v_mul_f16_e32 v143, 0x3b15, v97
	;; [unrolled: 1-line block ×7, first 2 shown]
	v_add_f16_e32 v160, v165, v160
	v_mul_f16_e32 v165, 0xb5ac, v82
	v_add_f16_e32 v161, v167, v161
	v_fmac_f16_e32 v168, 0xbb7b, v127
	v_add_f16_e32 v110, v123, v110
	v_fma_f16 v123, v105, 0x388b, -v138
	v_fmac_f16_e32 v145, 0x3bf1, v88
	v_add_f16_e32 v141, v26, v141
	v_fma_f16 v75, v75, 0xb9fd, -v153
	v_sub_f16_e32 v92, v144, v92
	v_mul_f16_e32 v169, 0x388b, v82
	v_mul_f16_e32 v163, 0x388b, v90
	;; [unrolled: 1-line block ×7, first 2 shown]
	v_add_f16_e32 v161, v168, v161
	v_add_f16_e32 v110, v123, v110
	v_mul_f16_e32 v83, 0xbbc4, v94
	v_fmac_f16_e32 v170, 0x3bf1, v132
	v_fma_f16 v139, v112, 0xb5ac, -v139
	v_add_f16_e32 v141, v145, v141
	v_fmac_f16_e32 v149, 0xba95, v101
	v_fma_f16 v82, v82, 0x2fb7, -v155
	v_add_f16_e32 v75, v12, v75
	v_add_f16_e32 v97, v136, v97
	;; [unrolled: 1-line block ×3, first 2 shown]
	v_sub_f16_e32 v91, v165, v91
	v_mul_f16_e32 v168, 0x2fb7, v94
	v_mul_f16_e32 v123, 0x2fb7, v107
	;; [unrolled: 1-line block ×3, first 2 shown]
	v_add_f16_e32 v161, v170, v161
	v_mul_f16_e32 v170, 0xb5ac, v94
	v_add_f16_e32 v110, v139, v110
	v_mul_f16_e32 v139, 0xb5ac, v107
	v_mul_f16_e32 v145, 0x3b15, v94
	;; [unrolled: 1-line block ×4, first 2 shown]
	v_add_f16_e32 v141, v149, v141
	v_fmac_f16_e32 v152, 0x33a8, v111
	v_add_f16_e32 v75, v82, v75
	v_fma_f16 v94, v94, 0x388b, -v154
	v_add_f16_e32 v90, v134, v90
	v_add_f16_e32 v97, v26, v97
	;; [unrolled: 1-line block ×3, first 2 shown]
	v_sub_f16_e32 v83, v83, v93
	v_add_f16_e32 v68, v12, v68
	v_add_f16_e32 v43, v26, v43
	v_mul_f16_e32 v101, 0xb5ac, v109
	v_mul_f16_e32 v149, 0xb9fd, v109
	;; [unrolled: 1-line block ×4, first 2 shown]
	v_add_f16_e32 v141, v152, v141
	v_fmac_f16_e32 v150, 0x3770, v127
	v_add_f16_e32 v75, v94, v75
	v_mul_f16_e32 v94, 0x2fb7, v112
	v_add_f16_e32 v90, v90, v97
	v_add_f16_e32 v107, v133, v107
	;; [unrolled: 1-line block ×3, first 2 shown]
	v_sub_f16_e32 v86, v155, v86
	v_add_f16_e32 v67, v68, v67
	v_add_f16_e32 v42, v43, v42
	v_mul_f16_e32 v153, 0xb5ac, v105
	v_mul_f16_e32 v111, 0x3b15, v105
	;; [unrolled: 1-line block ×4, first 2 shown]
	v_fma_f16 v105, v105, 0xbbc4, -v158
	v_mul_f16_e32 v158, 0x2fb7, v116
	v_add_f16_e32 v141, v150, v141
	v_fmac_f16_e32 v157, 0xbb7b, v132
	v_mul_f16_e32 v132, 0x388b, v116
	v_mul_f16_e32 v116, 0xbbc4, v116
	v_add_f16_e32 v90, v107, v90
	v_add_f16_e32 v107, v130, v109
	;; [unrolled: 1-line block ×3, first 2 shown]
	v_sub_f16_e32 v43, v94, v84
	v_add_f16_e32 v22, v67, v22
	v_add_f16_e32 v41, v42, v41
	v_mul_f16_e32 v152, 0xb9fd, v112
	v_mul_f16_e32 v150, 0x388b, v112
	v_add_f16_e32 v75, v105, v75
	v_mul_f16_e32 v105, 0xbbc4, v112
	v_fma_f16 v112, v112, 0x3b15, -v162
	v_mul_f16_e32 v162, 0xbbc4, v128
	v_add_f16_e32 v141, v157, v141
	v_mul_f16_e32 v157, 0x3b15, v128
	v_mul_f16_e32 v97, 0xb9fd, v128
	v_mul_f16_e32 v128, 0x388b, v128
	v_add_f16_e32 v120, v120, v151
	v_add_f16_e32 v90, v107, v90
	;; [unrolled: 1-line block ×16, first 2 shown]
	v_sub_f16_e32 v129, v171, v129
	v_add_f16_e32 v90, v107, v90
	v_sub_f16_e32 v107, v148, v108
	v_sub_f16_e32 v24, v142, v24
	v_add_f16_e32 v19, v21, v19
	v_add_f16_e32 v21, v22, v26
	;; [unrolled: 1-line block ×4, first 2 shown]
	v_sub_f16_e32 v118, v138, v118
	v_add_f16_e32 v113, v113, v167
	v_add_f16_e32 v107, v12, v107
	v_sub_f16_e32 v106, v137, v106
	v_add_f16_e32 v98, v98, v166
	v_add_f16_e32 v12, v12, v24
	;; [unrolled: 3-line block ×3, first 2 shown]
	v_add_f16_e32 v22, v22, v37
	v_add_f16_e32 v109, v118, v109
	v_sub_f16_e32 v116, v145, v124
	v_add_f16_e32 v113, v113, v120
	v_add_f16_e32 v118, v119, v139
	v_add_f16_e32 v106, v106, v107
	v_sub_f16_e32 v104, v170, v104
	v_add_f16_e32 v98, v98, v100
	;; [unrolled: 4-line block ×3, first 2 shown]
	v_add_f16_e32 v23, v79, v101
	v_add_f16_e32 v17, v18, v17
	;; [unrolled: 1-line block ×4, first 2 shown]
	v_sub_f16_e32 v116, v154, v125
	v_add_f16_e32 v113, v118, v113
	v_add_f16_e32 v82, v121, v82
	v_add_f16_e32 v104, v104, v106
	v_sub_f16_e32 v102, v111, v102
	v_add_f16_e32 v88, v88, v98
	v_add_f16_e32 v96, v96, v149
	v_add_f16_e32 v12, v19, v12
	;; [unrolled: 4-line block ×3, first 2 shown]
	v_add_f16_e32 v18, v18, v27
	v_mul_f16_e32 v136, 0xbbc4, v114
	v_mul_f16_e32 v134, 0x3b15, v114
	v_add_f16_e32 v75, v112, v75
	v_mul_f16_e32 v112, 0xb9fd, v114
	v_add_f16_e32 v108, v116, v109
	v_add_f16_e32 v82, v82, v113
	v_add_f16_e32 v109, v117, v132
	v_add_f16_e32 v95, v102, v104
	v_sub_f16_e32 v100, v150, v103
	v_add_f16_e32 v88, v96, v88
	v_add_f16_e32 v93, v99, v158
	;; [unrolled: 1-line block ×3, first 2 shown]
	v_sub_f16_e32 v19, v152, v77
	v_add_f16_e32 v14, v16, v14
	v_add_f16_e32 v16, v17, v21
	;; [unrolled: 1-line block ×3, first 2 shown]
	v_mul_f16_e32 v133, 0x388b, v114
	v_sub_f16_e32 v105, v105, v122
	v_add_f16_e32 v82, v109, v82
	v_add_f16_e32 v97, v115, v97
	;; [unrolled: 1-line block ×5, first 2 shown]
	v_sub_f16_e32 v83, v112, v87
	v_sub_f16_e32 v48, v134, v85
	v_add_f16_e32 v18, v81, v162
	v_add_f16_e32 v12, v19, v12
	;; [unrolled: 1-line block ×3, first 2 shown]
	v_mul_u32_u24_e32 v15, 26, v62
	v_add_f16_e32 v17, v17, v34
	v_sub_f16_e32 v19, v136, v71
	v_fma_f16 v140, v114, 0x2fb7, -v140
	v_fma_f16 v114, v114, 0xb5ac, -v164
	v_add_f16_e32 v105, v105, v108
	v_sub_f16_e32 v108, v133, v126
	v_add_f16_e32 v82, v97, v82
	v_add_f16_e32 v67, v89, v88
	;; [unrolled: 1-line block ×4, first 2 shown]
	v_or_b32_e32 v14, v15, v61
	v_add_f16_e32 v15, v17, v36
	v_add_f16_e32 v12, v19, v12
	;; [unrolled: 1-line block ×4, first 2 shown]
	v_lshlrev_b32_e32 v14, 2, v14
	v_pack_b32_f16 v13, v13, v15
	v_pack_b32_f16 v12, v12, v16
	;; [unrolled: 1-line block ×4, first 2 shown]
	v_add_f16_e32 v17, v108, v105
	v_add_f16_e32 v18, v114, v75
	;; [unrolled: 1-line block ×3, first 2 shown]
	ds_write2_b32 v14, v13, v12 offset1:2
	ds_write2_b32 v14, v15, v16 offset0:4 offset1:6
	v_pack_b32_f16 v16, v160, v159
	v_pack_b32_f16 v12, v17, v90
	;; [unrolled: 1-line block ×5, first 2 shown]
	v_perm_b32 v18, v33, v32, 0x5040100
	v_perm_b32 v19, v47, v44, 0x5040100
	;; [unrolled: 1-line block ×4, first 2 shown]
	ds_write2_b32 v14, v12, v13 offset0:8 offset1:10
	ds_write2_b32 v14, v15, v16 offset0:12 offset1:14
	;; [unrolled: 1-line block ×4, first 2 shown]
	ds_write_b32 v14, v22 offset:96
.LBB0_5:
	s_or_b32 exec_lo, exec_lo, s1
	v_add_nc_u32_e32 v12, 0x300, v51
	v_add_nc_u32_e32 v16, 0xc00, v51
	;; [unrolled: 1-line block ×3, first 2 shown]
	s_waitcnt lgkmcnt(0)
	s_barrier
	buffer_gl0_inv
	ds_read2_b32 v[14:15], v51 offset1:117
	ds_read2_b32 v[12:13], v12 offset0:42 offset1:198
	ds_read2_b32 v[18:19], v16 offset0:12 offset1:129
	;; [unrolled: 1-line block ×3, first 2 shown]
	ds_read_b32 v36, v51 offset:4056
	v_cmp_gt_u16_e32 vcc_lo, 39, v58
	s_and_saveexec_b32 s1, vcc_lo
	s_cbranch_execz .LBB0_7
; %bb.6:
	ds_read_b32 v32, v51 offset:1404
	ds_read_b32 v44, v51 offset:2964
	;; [unrolled: 1-line block ×3, first 2 shown]
	s_waitcnt lgkmcnt(2)
	v_lshrrev_b32_e32 v33, 16, v32
	s_waitcnt lgkmcnt(1)
	v_lshrrev_b32_e32 v47, 16, v44
	;; [unrolled: 2-line block ×3, first 2 shown]
.LBB0_7:
	s_or_b32 exec_lo, exec_lo, s1
	v_and_b32_e32 v21, 0xff, v58
	v_and_b32_e32 v22, 0xff, v31
	v_mov_b32_e32 v23, 0x4ec5
	v_mov_b32_e32 v68, 0x4e
	s_waitcnt lgkmcnt(3)
	v_lshrrev_b32_e32 v72, 16, v13
	v_mul_lo_u16 v21, 0x4f, v21
	v_mul_lo_u16 v22, 0x4f, v22
	s_waitcnt lgkmcnt(2)
	v_lshrrev_b32_e32 v75, 16, v18
	v_mov_b32_e32 v37, 2
	s_waitcnt lgkmcnt(1)
	v_lshrrev_b32_e32 v77, 16, v16
	v_lshrrev_b16 v38, 11, v21
	v_mul_u32_u24_sdwa v21, v25, v23 dst_sel:DWORD dst_unused:UNUSED_PAD src0_sel:WORD_0 src1_sel:DWORD
	v_lshrrev_b16 v39, 11, v22
	v_mul_u32_u24_sdwa v23, v29, v23 dst_sel:DWORD dst_unused:UNUSED_PAD src0_sel:WORD_0 src1_sel:DWORD
	v_lshrrev_b32_e32 v78, 16, v19
	v_mul_lo_u16 v22, v38, 26
	v_lshrrev_b32_e32 v40, 19, v21
	v_mul_lo_u16 v21, v39, 26
	v_lshrrev_b32_e32 v41, 19, v23
	v_mul_u32_u24_sdwa v38, v38, v68 dst_sel:DWORD dst_unused:UNUSED_PAD src0_sel:WORD_0 src1_sel:DWORD
	v_sub_nc_u16 v22, v58, v22
	v_mul_lo_u16 v23, v40, 26
	v_sub_nc_u16 v21, v31, v21
	v_mul_u32_u24_sdwa v39, v39, v68 dst_sel:DWORD dst_unused:UNUSED_PAD src0_sel:WORD_0 src1_sel:DWORD
	v_lshrrev_b32_e32 v80, 16, v17
	v_and_b32_e32 v42, 0xff, v22
	v_mul_lo_u16 v22, v41, 26
	v_and_b32_e32 v48, 0xff, v21
	v_sub_nc_u16 v43, v25, v23
	v_lshrrev_b32_e32 v76, 16, v15
	v_lshlrev_b32_e32 v21, 3, v42
	v_sub_nc_u16 v67, v29, v22
	v_lshlrev_b32_e32 v23, 3, v48
	v_lshlrev_b16 v22, 3, v43
	v_mad_u16 v40, 0x4e, v40, v43
	global_load_dwordx2 v[27:28], v21, s[10:11] offset:96
	s_waitcnt lgkmcnt(0)
	v_lshrrev_b32_e32 v43, 16, v36
	global_load_dwordx2 v[25:26], v23, s[10:11] offset:96
	v_lshlrev_b16 v21, 3, v67
	v_and_b32_e32 v22, 0xffff, v22
	v_mad_u16 v67, 0x4e, v41, v67
	v_add_lshl_u32 v70, v38, v42, 2
	v_add_lshl_u32 v69, v39, v48, 2
	v_and_b32_e32 v23, 0xffff, v21
	v_add_co_u32 v21, s1, s10, v22
	v_add_co_ci_u32_e64 v22, null, s11, 0, s1
	v_add_co_u32 v34, s1, s10, v23
	v_add_co_ci_u32_e64 v35, null, s11, 0, s1
	s_clause 0x1
	global_load_dwordx2 v[23:24], v[21:22], off offset:96
	global_load_dwordx2 v[21:22], v[34:35], off offset:96
	v_lshlrev_b32_sdwa v68, v37, v40 dst_sel:DWORD dst_unused:UNUSED_PAD src0_sel:DWORD src1_sel:WORD_0
	v_lshrrev_b32_e32 v71, 16, v14
	v_lshrrev_b32_e32 v79, 16, v12
	v_lshlrev_b32_e32 v35, 1, v58
	v_lshlrev_b32_e32 v34, 1, v31
	s_waitcnt vmcnt(0)
	s_barrier
	buffer_gl0_inv
	v_mul_f16_sdwa v38, v72, v27 dst_sel:DWORD dst_unused:UNUSED_PAD src0_sel:DWORD src1_sel:WORD_1
	v_mul_f16_sdwa v39, v13, v27 dst_sel:DWORD dst_unused:UNUSED_PAD src0_sel:DWORD src1_sel:WORD_1
	;; [unrolled: 1-line block ×8, first 2 shown]
	v_fma_f16 v38, v13, v27, -v38
	v_fmac_f16_e32 v39, v72, v27
	v_fma_f16 v40, v18, v28, -v40
	v_fmac_f16_e32 v41, v75, v28
	v_fmac_f16_e32 v48, v77, v25
	;; [unrolled: 1-line block ×3, first 2 shown]
	v_fma_f16 v42, v16, v25, -v42
	v_fma_f16 v19, v19, v26, -v81
	v_mul_f16_sdwa v18, v80, v23 dst_sel:DWORD dst_unused:UNUSED_PAD src0_sel:DWORD src1_sel:WORD_1
	v_mul_f16_sdwa v72, v17, v23 dst_sel:DWORD dst_unused:UNUSED_PAD src0_sel:DWORD src1_sel:WORD_1
	;; [unrolled: 1-line block ×8, first 2 shown]
	v_fma_f16 v83, v17, v23, -v18
	v_fmac_f16_e32 v72, v80, v23
	v_fma_f16 v36, v36, v24, -v75
	v_fmac_f16_e32 v77, v43, v24
	v_fma_f16 v17, v44, v21, -v78
	v_add_f16_e32 v44, v38, v40
	v_sub_f16_e32 v78, v48, v82
	v_add_f16_e32 v80, v76, v48
	v_add_f16_e32 v48, v48, v82
	v_fmac_f16_e32 v16, v47, v21
	v_fma_f16 v18, v45, v22, -v81
	v_fmac_f16_e32 v13, v46, v22
	v_sub_f16_e32 v45, v39, v41
	v_add_f16_e32 v46, v71, v39
	v_add_f16_e32 v39, v39, v41
	;; [unrolled: 1-line block ×5, first 2 shown]
	v_fma_f16 v14, -0.5, v44, v14
	v_fmac_f16_e32 v76, -0.5, v48
	v_add_f16_e32 v44, v83, v36
	v_add_f16_e32 v48, v72, v77
	v_sub_f16_e32 v38, v38, v40
	v_sub_f16_e32 v42, v42, v19
	v_add_f16_e32 v41, v46, v41
	v_fmac_f16_e32 v71, -0.5, v39
	v_fmac_f16_e32 v15, -0.5, v75
	v_add_f16_e32 v46, v79, v72
	v_add_f16_e32 v75, v17, v18
	;; [unrolled: 1-line block ×7, first 2 shown]
	v_sub_f16_e32 v47, v72, v77
	v_sub_f16_e32 v72, v83, v36
	v_fmac_f16_e32 v12, -0.5, v44
	v_fmac_f16_e32 v79, -0.5, v48
	v_sub_f16_e32 v80, v16, v13
	v_sub_f16_e32 v82, v17, v18
	v_fmamk_f16 v83, v45, 0x3aee, v14
	v_fmac_f16_e32 v14, 0xbaee, v45
	v_fmamk_f16 v84, v38, 0xbaee, v71
	v_fmac_f16_e32 v71, 0x3aee, v38
	;; [unrolled: 2-line block ×4, first 2 shown]
	v_add_f16_e32 v42, v46, v77
	v_fma_f16 v45, -0.5, v75, v32
	v_fma_f16 v46, -0.5, v81, v33
	v_add_f16_e32 v36, v43, v36
	v_pack_b32_f16 v40, v40, v41
	v_pack_b32_f16 v19, v19, v39
	v_fmamk_f16 v39, v47, 0x3aee, v12
	v_fmamk_f16 v41, v72, 0xbaee, v79
	v_fmac_f16_e32 v12, 0xbaee, v47
	v_fmac_f16_e32 v79, 0x3aee, v72
	v_fmamk_f16 v47, v80, 0x3aee, v45
	v_fmac_f16_e32 v45, 0xbaee, v80
	v_fmamk_f16 v48, v82, 0xbaee, v46
	v_fmac_f16_e32 v46, 0x3aee, v82
	v_pack_b32_f16 v43, v83, v84
	v_pack_b32_f16 v14, v14, v71
	;; [unrolled: 1-line block ×7, first 2 shown]
	ds_write2_b32 v70, v40, v43 offset1:26
	ds_write_b32 v70, v14 offset:208
	ds_write2_b32 v69, v19, v38 offset1:26
	ds_write_b32 v69, v15 offset:208
	;; [unrolled: 2-line block ×3, first 2 shown]
	s_and_saveexec_b32 s1, vcc_lo
	s_cbranch_execz .LBB0_9
; %bb.8:
	v_add_f16_e32 v12, v33, v16
	v_add_f16_e32 v14, v32, v17
	v_perm_b32 v15, v48, v47, 0x5040100
	v_add_f16_e32 v12, v12, v13
	v_add_f16_e32 v13, v14, v18
	v_lshlrev_b32_sdwa v14, v37, v67 dst_sel:DWORD dst_unused:UNUSED_PAD src0_sel:DWORD src1_sel:WORD_0
	v_pack_b32_f16 v12, v13, v12
	v_perm_b32 v13, v46, v45, 0x5040100
	ds_write2_b32 v14, v12, v15 offset1:26
	ds_write_b32 v14, v13 offset:208
.LBB0_9:
	s_or_b32 exec_lo, exec_lo, s1
	v_add_co_u32 v12, s1, 0xffffffb2, v58
	v_add_co_ci_u32_e64 v13, null, 0, -1, s1
	v_cmp_gt_u16_e64 s1, 0x4e, v58
	s_waitcnt lgkmcnt(0)
	s_barrier
	buffer_gl0_inv
	v_add_nc_u32_e32 v38, 0x200, v51
	v_cndmask_b32_e64 v33, v13, 0, s1
	v_cndmask_b32_e64 v32, v12, v58, s1
	v_add_nc_u32_e32 v75, 0x600, v51
	v_add_nc_u32_e32 v42, 0xa00, v51
	;; [unrolled: 1-line block ×3, first 2 shown]
	ds_read2_b32 v[36:37], v51 offset1:117
	v_lshlrev_b64 v[12:13], 4, v[32:33]
	v_mov_b32_e32 v72, 0x186
	v_add_nc_u32_e32 v79, 0x300, v51
	v_add_nc_u32_e32 v80, 0xc00, v51
	v_add_co_u32 v12, s1, s10, v12
	v_add_co_ci_u32_e64 v13, s1, s11, v13, s1
	v_cmp_lt_u16_e64 s1, 0x4d, v58
	global_load_dwordx4 v[16:19], v[12:13], off offset:304
	v_lshrrev_b16 v12, 1, v31
	v_and_b32_e32 v12, 0x7f, v12
	v_mul_lo_u16 v12, 0xd3, v12
	v_lshrrev_b16 v33, 13, v12
	v_mul_lo_u16 v12, 0x4e, v33
	v_mul_u32_u24_sdwa v33, v33, v72 dst_sel:DWORD dst_unused:UNUSED_PAD src0_sel:WORD_0 src1_sel:DWORD
	v_sub_nc_u16 v12, v31, v12
	v_and_b32_e32 v31, 0xff, v12
	v_lshlrev_b32_e32 v12, 4, v31
	v_add_lshl_u32 v72, v33, v31, 2
	global_load_dwordx4 v[12:15], v12, s[10:11] offset:304
	ds_read2_b32 v[38:39], v38 offset0:106 offset1:223
	ds_read2_b32 v[40:41], v75 offset0:84 offset1:201
	;; [unrolled: 1-line block ×4, first 2 shown]
	v_cndmask_b32_e64 v44, 0, 0x186, s1
	s_waitcnt vmcnt(0) lgkmcnt(0)
	s_barrier
	buffer_gl0_inv
	v_add_lshl_u32 v71, v32, v44, 2
	v_lshrrev_b32_e32 v32, 16, v36
	v_lshrrev_b32_e32 v44, 16, v37
	v_lshrrev_b32_e32 v78, 16, v38
	v_lshrrev_b32_e32 v81, 16, v40
	v_lshrrev_b32_e32 v82, 16, v42
	v_lshrrev_b32_e32 v83, 16, v76
	v_lshrrev_b32_e32 v84, 16, v39
	v_lshrrev_b32_e32 v85, 16, v41
	v_lshrrev_b32_e32 v86, 16, v43
	v_lshrrev_b32_e32 v87, 16, v77
	v_mul_f16_sdwa v31, v78, v16 dst_sel:DWORD dst_unused:UNUSED_PAD src0_sel:DWORD src1_sel:WORD_1
	v_mul_f16_sdwa v33, v38, v16 dst_sel:DWORD dst_unused:UNUSED_PAD src0_sel:DWORD src1_sel:WORD_1
	;; [unrolled: 1-line block ×8, first 2 shown]
	v_fma_f16 v31, v38, v16, -v31
	v_fmac_f16_e32 v33, v78, v16
	v_fma_f16 v38, v40, v17, -v88
	v_fmac_f16_e32 v89, v81, v17
	;; [unrolled: 2-line block ×3, first 2 shown]
	v_fmac_f16_e32 v91, v82, v18
	v_fma_f16 v42, v76, v19, -v92
	v_add_f16_e32 v76, v36, v31
	v_add_f16_e32 v78, v38, v40
	v_sub_f16_e32 v83, v31, v38
	v_sub_f16_e32 v92, v38, v31
	;; [unrolled: 1-line block ×3, first 2 shown]
	v_add_f16_e32 v90, v31, v42
	v_sub_f16_e32 v94, v40, v42
	v_add_f16_e32 v95, v32, v33
	v_add_f16_e32 v96, v89, v91
	v_sub_f16_e32 v98, v33, v89
	v_sub_f16_e32 v99, v93, v91
	v_add_f16_e32 v100, v33, v93
	v_sub_f16_e32 v81, v33, v93
	v_sub_f16_e32 v33, v89, v33
	;; [unrolled: 1-line block ×5, first 2 shown]
	v_add_f16_e32 v38, v76, v38
	v_fma_f16 v76, -0.5, v78, v36
	v_add_f16_e32 v78, v83, v88
	v_fma_f16 v36, -0.5, v90, v36
	v_add_f16_e32 v83, v92, v94
	v_add_f16_e32 v88, v95, v89
	v_fma_f16 v89, -0.5, v96, v32
	v_add_f16_e32 v90, v98, v99
	v_fmac_f16_e32 v32, -0.5, v100
	v_mul_f16_sdwa v92, v84, v12 dst_sel:DWORD dst_unused:UNUSED_PAD src0_sel:DWORD src1_sel:WORD_1
	v_mul_f16_sdwa v95, v85, v13 dst_sel:DWORD dst_unused:UNUSED_PAD src0_sel:DWORD src1_sel:WORD_1
	;; [unrolled: 1-line block ×5, first 2 shown]
	v_sub_f16_e32 v31, v31, v42
	v_add_f16_e32 v33, v33, v101
	v_mul_f16_sdwa v94, v39, v12 dst_sel:DWORD dst_unused:UNUSED_PAD src0_sel:DWORD src1_sel:WORD_1
	v_mul_f16_sdwa v100, v87, v15 dst_sel:DWORD dst_unused:UNUSED_PAD src0_sel:DWORD src1_sel:WORD_1
	;; [unrolled: 1-line block ×3, first 2 shown]
	v_add_f16_e32 v38, v38, v40
	v_fmamk_f16 v40, v81, 0x3b9c, v76
	v_fmac_f16_e32 v76, 0xbb9c, v81
	v_fmamk_f16 v103, v97, 0x3b9c, v32
	v_fmac_f16_e32 v32, 0xbb9c, v97
	v_fma_f16 v39, v39, v12, -v92
	v_fma_f16 v41, v41, v13, -v95
	v_fmac_f16_e32 v96, v85, v13
	v_fma_f16 v43, v43, v14, -v98
	v_fmac_f16_e32 v99, v86, v14
	v_fmamk_f16 v102, v82, 0xbb9c, v36
	v_fmac_f16_e32 v36, 0x3b9c, v82
	v_add_f16_e32 v88, v88, v91
	v_fmamk_f16 v91, v31, 0xbb9c, v89
	v_fmac_f16_e32 v89, 0x3b9c, v31
	v_fmac_f16_e32 v94, v84, v12
	v_fma_f16 v84, v77, v15, -v100
	v_fmac_f16_e32 v101, v87, v15
	v_fmac_f16_e32 v40, 0x38b4, v82
	;; [unrolled: 1-line block ×5, first 2 shown]
	v_add_f16_e32 v31, v37, v39
	v_add_f16_e32 v77, v41, v43
	v_add_f16_e32 v95, v96, v99
	v_fmac_f16_e32 v36, 0xb8b4, v81
	v_fmac_f16_e32 v89, 0x38b4, v97
	v_add_f16_e32 v87, v39, v84
	v_add_f16_e32 v104, v94, v101
	;; [unrolled: 1-line block ×3, first 2 shown]
	v_fmac_f16_e32 v102, 0x38b4, v81
	v_add_f16_e32 v42, v88, v93
	v_fmac_f16_e32 v91, 0xb8b4, v97
	v_sub_f16_e32 v81, v94, v101
	v_sub_f16_e32 v85, v39, v41
	;; [unrolled: 1-line block ×3, first 2 shown]
	v_add_f16_e32 v93, v44, v94
	v_sub_f16_e32 v39, v39, v84
	v_fmac_f16_e32 v40, 0x34f2, v78
	v_fmac_f16_e32 v76, 0x34f2, v78
	v_add_f16_e32 v31, v31, v41
	v_fma_f16 v77, -0.5, v77, v37
	v_fma_f16 v78, -0.5, v95, v44
	v_sub_f16_e32 v82, v96, v99
	v_sub_f16_e32 v92, v43, v84
	;; [unrolled: 1-line block ×3, first 2 shown]
	v_fmac_f16_e32 v36, 0x34f2, v83
	v_fmac_f16_e32 v89, 0x34f2, v90
	;; [unrolled: 1-line block ×3, first 2 shown]
	v_fmac_f16_e32 v37, -0.5, v87
	v_fmac_f16_e32 v44, -0.5, v104
	v_sub_f16_e32 v86, v84, v43
	v_sub_f16_e32 v98, v94, v96
	;; [unrolled: 1-line block ×3, first 2 shown]
	v_fmac_f16_e32 v91, 0x34f2, v90
	v_fmac_f16_e32 v103, 0x34f2, v33
	v_pack_b32_f16 v33, v38, v42
	v_add_f16_e32 v42, v93, v96
	v_add_f16_e32 v31, v31, v43
	v_fmamk_f16 v43, v81, 0x3b9c, v77
	v_fmamk_f16 v87, v39, 0xbb9c, v78
	v_sub_f16_e32 v94, v96, v94
	v_sub_f16_e32 v105, v99, v101
	v_add_f16_e32 v41, v88, v92
	v_pack_b32_f16 v32, v36, v32
	v_pack_b32_f16 v36, v76, v89
	v_fmamk_f16 v76, v82, 0xbb9c, v37
	v_fmac_f16_e32 v37, 0x3b9c, v82
	v_fmamk_f16 v88, v97, 0x3b9c, v44
	v_fmac_f16_e32 v44, 0xbb9c, v97
	v_fmac_f16_e32 v77, 0xbb9c, v81
	;; [unrolled: 1-line block ×4, first 2 shown]
	v_add_f16_e32 v38, v85, v86
	v_add_f16_e32 v83, v98, v100
	v_pack_b32_f16 v40, v40, v91
	v_add_f16_e32 v42, v42, v99
	v_fmac_f16_e32 v43, 0x38b4, v82
	v_fmac_f16_e32 v87, 0xb8b4, v97
	v_add_f16_e32 v85, v94, v105
	v_fmac_f16_e32 v76, 0x38b4, v81
	v_fmac_f16_e32 v37, 0xb8b4, v81
	;; [unrolled: 1-line block ×6, first 2 shown]
	ds_write2_b32 v71, v33, v40 offset1:78
	v_add_f16_e32 v31, v31, v84
	v_add_f16_e32 v33, v42, v101
	v_fmac_f16_e32 v43, 0x34f2, v38
	v_fmac_f16_e32 v87, 0x34f2, v83
	;; [unrolled: 1-line block ×8, first 2 shown]
	v_pack_b32_f16 v86, v102, v103
	v_pack_b32_f16 v31, v31, v33
	;; [unrolled: 1-line block ×6, first 2 shown]
	ds_write2_b32 v71, v86, v32 offset0:156 offset1:234
	ds_write_b32 v71, v36 offset:1248
	ds_write2_b32 v72, v31, v33 offset1:78
	ds_write2_b32 v72, v38, v37 offset0:156 offset1:234
	ds_write_b32 v72, v39 offset:1248
	s_waitcnt lgkmcnt(0)
	s_barrier
	buffer_gl0_inv
	ds_read2_b32 v[39:40], v51 offset1:117
	ds_read2_b32 v[37:38], v79 offset0:42 offset1:198
	ds_read2_b32 v[43:44], v80 offset0:12 offset1:129
	;; [unrolled: 1-line block ×3, first 2 shown]
	ds_read_b32 v79, v51 offset:4056
	s_and_saveexec_b32 s1, vcc_lo
	s_cbranch_execz .LBB0_11
; %bb.10:
	ds_read_b32 v77, v51 offset:1404
	ds_read_b32 v47, v51 offset:2964
	;; [unrolled: 1-line block ×3, first 2 shown]
	s_waitcnt lgkmcnt(2)
	v_lshrrev_b32_e32 v78, 16, v77
	s_waitcnt lgkmcnt(1)
	v_lshrrev_b32_e32 v48, 16, v47
	;; [unrolled: 2-line block ×3, first 2 shown]
.LBB0_11:
	s_or_b32 exec_lo, exec_lo, s1
	v_lshlrev_b32_e32 v31, 2, v35
	v_add_co_u32 v35, s1, 0xffffffd9, v58
	v_add_co_ci_u32_e64 v36, null, 0, -1, s1
	v_lshlrev_b32_e32 v32, 2, v34
	v_cndmask_b32_e32 v29, v35, v29, vcc_lo
	s_clause 0x1
	global_load_dwordx2 v[33:34], v31, s[10:11] offset:1552
	global_load_dwordx2 v[31:32], v32, s[10:11] offset:1552
	v_cndmask_b32_e32 v30, v36, v30, vcc_lo
	s_waitcnt lgkmcnt(3)
	v_lshrrev_b32_e32 v81, 16, v38
	s_waitcnt lgkmcnt(2)
	v_lshrrev_b32_e32 v82, 16, v43
	;; [unrolled: 2-line block ×3, first 2 shown]
	v_lshrrev_b32_e32 v85, 16, v44
	v_lshlrev_b64 v[29:30], 3, v[29:30]
	v_lshrrev_b32_e32 v80, 16, v39
	v_lshrrev_b32_e32 v83, 16, v40
	v_lshrrev_b32_e32 v87, 16, v42
	s_waitcnt lgkmcnt(0)
	v_lshrrev_b32_e32 v88, 16, v79
	v_lshrrev_b32_e32 v86, 16, v37
	v_add_co_u32 v29, s1, s10, v29
	v_add_co_ci_u32_e64 v30, s1, s11, v30, s1
	s_clause 0x1
	global_load_dwordx2 v[29:30], v[29:30], off offset:1552
	global_load_dwordx2 v[35:36], v64, s[10:11] offset:1552
	v_add_nc_u32_e32 v76, 0xea0, v66
	s_waitcnt vmcnt(3)
	v_mul_f16_sdwa v89, v81, v33 dst_sel:DWORD dst_unused:UNUSED_PAD src0_sel:DWORD src1_sel:WORD_1
	v_mul_f16_sdwa v90, v38, v33 dst_sel:DWORD dst_unused:UNUSED_PAD src0_sel:DWORD src1_sel:WORD_1
	;; [unrolled: 1-line block ×4, first 2 shown]
	s_waitcnt vmcnt(2)
	v_mul_f16_sdwa v93, v84, v31 dst_sel:DWORD dst_unused:UNUSED_PAD src0_sel:DWORD src1_sel:WORD_1
	v_mul_f16_sdwa v94, v41, v31 dst_sel:DWORD dst_unused:UNUSED_PAD src0_sel:DWORD src1_sel:WORD_1
	;; [unrolled: 1-line block ×4, first 2 shown]
	v_fma_f16 v38, v38, v33, -v89
	v_fmac_f16_e32 v90, v81, v33
	v_fma_f16 v43, v43, v34, -v91
	v_fmac_f16_e32 v92, v82, v34
	;; [unrolled: 2-line block ×4, first 2 shown]
	v_add_f16_e32 v81, v39, v38
	v_add_f16_e32 v82, v38, v43
	v_sub_f16_e32 v84, v90, v92
	v_add_f16_e32 v85, v80, v90
	v_add_f16_e32 v89, v90, v92
	v_sub_f16_e32 v90, v38, v43
	v_add_f16_e32 v38, v40, v41
	v_add_f16_e32 v91, v41, v44
	;; [unrolled: 1-line block ×3, first 2 shown]
	v_sub_f16_e32 v93, v94, v96
	v_add_f16_e32 v94, v94, v96
	v_sub_f16_e32 v97, v41, v44
	v_add_f16_e32 v43, v81, v43
	v_fma_f16 v39, -0.5, v82, v39
	v_add_f16_e32 v81, v85, v92
	v_fmac_f16_e32 v80, -0.5, v89
	v_add_f16_e32 v44, v38, v44
	v_fmac_f16_e32 v40, -0.5, v91
	v_add_f16_e32 v82, v95, v96
	s_waitcnt vmcnt(0)
	v_mul_f16_sdwa v85, v87, v35 dst_sel:DWORD dst_unused:UNUSED_PAD src0_sel:DWORD src1_sel:WORD_1
	v_mul_f16_sdwa v89, v42, v35 dst_sel:DWORD dst_unused:UNUSED_PAD src0_sel:DWORD src1_sel:WORD_1
	;; [unrolled: 1-line block ×4, first 2 shown]
	v_fmac_f16_e32 v83, -0.5, v94
	v_mul_f16_sdwa v94, v48, v29 dst_sel:DWORD dst_unused:UNUSED_PAD src0_sel:DWORD src1_sel:WORD_1
	v_mul_f16_sdwa v41, v47, v29 dst_sel:DWORD dst_unused:UNUSED_PAD src0_sel:DWORD src1_sel:WORD_1
	;; [unrolled: 1-line block ×4, first 2 shown]
	v_fmamk_f16 v96, v84, 0x3aee, v39
	v_fmac_f16_e32 v39, 0xbaee, v84
	v_fmamk_f16 v84, v90, 0xbaee, v80
	v_pack_b32_f16 v44, v44, v82
	v_fma_f16 v82, v42, v35, -v85
	v_fmac_f16_e32 v89, v87, v35
	v_fma_f16 v79, v79, v36, -v91
	v_fmac_f16_e32 v92, v88, v36
	v_fmac_f16_e32 v80, 0x3aee, v90
	v_fmamk_f16 v90, v93, 0x3aee, v40
	v_fmac_f16_e32 v40, 0xbaee, v93
	v_fmamk_f16 v93, v97, 0xbaee, v83
	v_fmac_f16_e32 v83, 0x3aee, v97
	v_pack_b32_f16 v81, v43, v81
	v_fma_f16 v42, v47, v29, -v94
	v_fmac_f16_e32 v41, v48, v29
	v_fma_f16 v43, v45, v30, -v95
	v_fmac_f16_e32 v38, v46, v30
	v_pack_b32_f16 v45, v96, v84
	v_add_f16_e32 v48, v82, v79
	v_add_f16_e32 v84, v89, v92
	v_pack_b32_f16 v47, v40, v83
	v_add_f16_e32 v40, v37, v82
	v_add_f16_e32 v85, v42, v43
	;; [unrolled: 1-line block ×3, first 2 shown]
	v_pack_b32_f16 v39, v39, v80
	v_add_f16_e32 v83, v86, v89
	v_sub_f16_e32 v80, v89, v92
	v_sub_f16_e32 v82, v82, v79
	v_fmac_f16_e32 v37, -0.5, v48
	v_fmac_f16_e32 v86, -0.5, v84
	v_sub_f16_e32 v87, v41, v38
	v_sub_f16_e32 v89, v42, v43
	ds_write_b32 v51, v45 offset:1560
	ds_write_b32 v51, v39 offset:3120
	ds_write2_b32 v51, v81, v44 offset1:117
	v_add_f16_e32 v44, v40, v79
	v_fma_f16 v40, -0.5, v85, v77
	v_fma_f16 v79, -0.5, v88, v78
	v_add_f16_e32 v45, v83, v92
	v_fmamk_f16 v48, v80, 0x3aee, v37
	v_fmamk_f16 v81, v82, 0xbaee, v86
	v_fmac_f16_e32 v37, 0xbaee, v80
	v_fmac_f16_e32 v86, 0x3aee, v82
	v_fmamk_f16 v39, v87, 0x3aee, v40
	v_fmac_f16_e32 v40, 0xbaee, v87
	v_fmamk_f16 v80, v89, 0xbaee, v79
	v_fmac_f16_e32 v79, 0x3aee, v89
	v_pack_b32_f16 v44, v44, v45
	v_pack_b32_f16 v46, v90, v93
	v_pack_b32_f16 v45, v48, v81
	v_pack_b32_f16 v37, v37, v86
	ds_write_b32 v51, v47 offset:3588
	ds_write_b32 v51, v44 offset:936
	ds_write2_b32 v75, v46, v45 offset0:123 offset1:240
	ds_write_b32 v51, v37 offset:4056
	s_and_saveexec_b32 s1, vcc_lo
	s_cbranch_execz .LBB0_13
; %bb.12:
	v_add_f16_e32 v37, v78, v41
	v_add_f16_e32 v41, v77, v42
	;; [unrolled: 1-line block ×4, first 2 shown]
	v_perm_b32 v41, v80, v39, 0x5040100
	v_pack_b32_f16 v37, v38, v37
	v_perm_b32 v38, v79, v40, 0x5040100
	ds_write_b32 v51, v41 offset:2964
	ds_write_b32 v51, v37 offset:1404
	;; [unrolled: 1-line block ×3, first 2 shown]
.LBB0_13:
	s_or_b32 exec_lo, exec_lo, s1
	v_lshlrev_b32_e32 v37, 2, v58
	s_waitcnt lgkmcnt(0)
	s_barrier
	buffer_gl0_inv
	v_add_nc_u32_e32 v92, 0x600, v51
	v_add_co_u32 v43, s1, s8, v37
	v_add_co_ci_u32_e64 v44, null, s9, 0, s1
	v_add_nc_u32_e32 v77, 0xa00, v51
	v_add_co_u32 v37, s1, 0x1000, v43
	v_add_co_ci_u32_e64 v38, s1, 0, v44, s1
	v_add_nc_u32_e32 v81, 0x200, v51
	v_add_nc_u32_e32 v93, 0xe00, v51
	;; [unrolled: 1-line block ×3, first 2 shown]
	global_load_dword v45, v[37:38], off offset:584
	v_add_co_u32 v37, s1, 0x1248, v43
	v_add_co_ci_u32_e64 v38, s1, 0, v44, s1
	v_add_co_u32 v41, s1, 0x1800, v43
	v_add_co_ci_u32_e64 v42, s1, 0, v44, s1
	global_load_dword v75, v[37:38], off offset:468
	v_add_co_u32 v43, s1, 0x2000, v43
	s_clause 0x2
	global_load_dword v84, v[41:42], off offset:876
	global_load_dword v85, v[41:42], off offset:1344
	;; [unrolled: 1-line block ×3, first 2 shown]
	v_add_co_ci_u32_e64 v44, s1, 0, v44, s1
	s_clause 0x4
	global_load_dword v87, v[41:42], off offset:1812
	global_load_dword v88, v[37:38], off offset:1404
	;; [unrolled: 1-line block ×5, first 2 shown]
	ds_read2_b32 v[37:38], v51 offset1:117
	v_add_nc_u32_e32 v83, 0x400, v51
	s_waitcnt lgkmcnt(0)
	v_lshrrev_b32_e32 v41, 16, v37
	s_waitcnt vmcnt(9)
	v_mul_f16_sdwa v42, v41, v45 dst_sel:DWORD dst_unused:UNUSED_PAD src0_sel:DWORD src1_sel:WORD_1
	v_mul_f16_sdwa v43, v37, v45 dst_sel:DWORD dst_unused:UNUSED_PAD src0_sel:DWORD src1_sel:WORD_1
	v_fma_f16 v37, v37, v45, -v42
	v_fmac_f16_e32 v43, v41, v45
	s_waitcnt vmcnt(8)
	v_mul_f16_sdwa v94, v38, v75 dst_sel:DWORD dst_unused:UNUSED_PAD src0_sel:DWORD src1_sel:WORD_1
	v_pack_b32_f16 v37, v37, v43
	ds_write_b32 v51, v37
	ds_read2_b32 v[41:42], v92 offset0:84 offset1:201
	ds_read2_b32 v[43:44], v77 offset0:62 offset1:179
	;; [unrolled: 1-line block ×4, first 2 shown]
	v_lshrrev_b32_e32 v37, 16, v38
	v_mul_f16_sdwa v78, v37, v75 dst_sel:DWORD dst_unused:UNUSED_PAD src0_sel:DWORD src1_sel:WORD_1
	v_fmac_f16_e32 v94, v37, v75
	v_fma_f16 v38, v38, v75, -v78
	v_add_nc_u32_e32 v78, 0xc00, v51
	v_pack_b32_f16 v37, v38, v94
	s_waitcnt lgkmcnt(3)
	v_lshrrev_b32_e32 v38, 16, v42
	s_waitcnt vmcnt(7)
	v_mul_f16_sdwa v75, v42, v84 dst_sel:DWORD dst_unused:UNUSED_PAD src0_sel:DWORD src1_sel:WORD_1
	s_waitcnt lgkmcnt(2)
	v_lshrrev_b32_e32 v94, 16, v43
	s_waitcnt vmcnt(6)
	v_mul_f16_sdwa v95, v43, v85 dst_sel:DWORD dst_unused:UNUSED_PAD src0_sel:DWORD src1_sel:WORD_1
	;; [unrolled: 4-line block ×3, first 2 shown]
	v_lshrrev_b32_e32 v98, 16, v44
	s_waitcnt vmcnt(4)
	v_mul_f16_sdwa v99, v44, v87 dst_sel:DWORD dst_unused:UNUSED_PAD src0_sel:DWORD src1_sel:WORD_1
	v_lshrrev_b32_e32 v100, 16, v46
	s_waitcnt vmcnt(3)
	v_mul_f16_sdwa v101, v46, v88 dst_sel:DWORD dst_unused:UNUSED_PAD src0_sel:DWORD src1_sel:WORD_1
	s_waitcnt lgkmcnt(0)
	v_lshrrev_b32_e32 v102, 16, v47
	s_waitcnt vmcnt(2)
	v_mul_f16_sdwa v103, v47, v89 dst_sel:DWORD dst_unused:UNUSED_PAD src0_sel:DWORD src1_sel:WORD_1
	v_lshrrev_b32_e32 v104, 16, v41
	s_waitcnt vmcnt(1)
	v_mul_f16_sdwa v105, v41, v90 dst_sel:DWORD dst_unused:UNUSED_PAD src0_sel:DWORD src1_sel:WORD_1
	v_lshrrev_b32_e32 v106, 16, v48
	v_mul_f16_sdwa v108, v38, v84 dst_sel:DWORD dst_unused:UNUSED_PAD src0_sel:DWORD src1_sel:WORD_1
	v_fmac_f16_e32 v75, v38, v84
	v_mul_f16_sdwa v38, v94, v85 dst_sel:DWORD dst_unused:UNUSED_PAD src0_sel:DWORD src1_sel:WORD_1
	v_fmac_f16_e32 v95, v94, v85
	;; [unrolled: 2-line block ×6, first 2 shown]
	v_mul_f16_sdwa v102, v104, v90 dst_sel:DWORD dst_unused:UNUSED_PAD src0_sel:DWORD src1_sel:WORD_1
	s_waitcnt vmcnt(0)
	v_mul_f16_sdwa v107, v48, v91 dst_sel:DWORD dst_unused:UNUSED_PAD src0_sel:DWORD src1_sel:WORD_1
	v_fmac_f16_e32 v105, v104, v90
	v_mul_f16_sdwa v104, v106, v91 dst_sel:DWORD dst_unused:UNUSED_PAD src0_sel:DWORD src1_sel:WORD_1
	v_fma_f16 v42, v42, v84, -v108
	v_fma_f16 v38, v43, v85, -v38
	v_fma_f16 v43, v45, v86, -v94
	v_fma_f16 v44, v44, v87, -v96
	v_fma_f16 v45, v46, v88, -v98
	v_fma_f16 v46, v47, v89, -v100
	v_fma_f16 v41, v41, v90, -v102
	v_fmac_f16_e32 v107, v106, v91
	v_fma_f16 v47, v48, v91, -v104
	v_pack_b32_f16 v42, v42, v75
	v_pack_b32_f16 v38, v38, v95
	;; [unrolled: 1-line block ×8, first 2 shown]
	ds_write2_b32 v82, v42, v38 offset0:73 offset1:190
	ds_write2_b32 v51, v37, v43 offset0:117 offset1:234
	;; [unrolled: 1-line block ×4, first 2 shown]
	ds_write_b32 v51, v47 offset:4212
	s_waitcnt lgkmcnt(0)
	s_barrier
	buffer_gl0_inv
	ds_read2_b32 v[84:85], v51 offset1:117
	ds_read2_b32 v[41:42], v92 offset0:84 offset1:201
	ds_read2_b32 v[43:44], v77 offset0:62 offset1:179
	ds_read2_b32 v[86:87], v81 offset0:106 offset1:223
	ds_read2_b32 v[88:89], v93 offset0:40 offset1:157
	s_waitcnt lgkmcnt(0)
	s_barrier
	buffer_gl0_inv
	v_pk_add_f16 v38, v84, v42 neg_lo:[0,1] neg_hi:[0,1]
	v_pk_add_f16 v48, v85, v43 neg_lo:[0,1] neg_hi:[0,1]
	;; [unrolled: 1-line block ×5, first 2 shown]
	v_pk_fma_f16 v37, v84, 2.0, v38 op_sel_hi:[1,0,1] neg_lo:[0,0,1] neg_hi:[0,0,1]
	v_pk_fma_f16 v47, v85, 2.0, v48 op_sel_hi:[1,0,1] neg_lo:[0,0,1] neg_hi:[0,0,1]
	;; [unrolled: 1-line block ×5, first 2 shown]
	v_lshrrev_b32_e32 v75, 16, v37
	ds_write_b64 v66, v[37:38]
	v_lshrrev_b32_e32 v86, 16, v47
	v_lshrrev_b32_e32 v85, 16, v45
	;; [unrolled: 1-line block ×4, first 2 shown]
	ds_write_b64 v65, v[47:48]
	ds_write_b64 v64, v[45:46]
	;; [unrolled: 1-line block ×4, first 2 shown]
	s_waitcnt lgkmcnt(0)
	s_barrier
	buffer_gl0_inv
	s_and_saveexec_b32 s1, s0
	s_cbranch_execz .LBB0_15
; %bb.14:
	ds_read2_b32 v[37:38], v51 offset1:90
	ds_read2_b32 v[47:48], v81 offset0:52 offset1:142
	ds_read2_b32 v[45:46], v83 offset0:104 offset1:194
	;; [unrolled: 1-line block ×5, first 2 shown]
	ds_read_b32 v73, v51 offset:4320
	s_waitcnt lgkmcnt(6)
	v_lshrrev_b32_e32 v75, 16, v37
	s_waitcnt lgkmcnt(5)
	v_lshrrev_b32_e32 v86, 16, v47
	;; [unrolled: 2-line block ×6, first 2 shown]
	v_lshrrev_b32_e32 v79, 16, v40
	s_waitcnt lgkmcnt(0)
	v_lshrrev_b32_e32 v74, 16, v73
.LBB0_15:
	s_or_b32 exec_lo, exec_lo, s1
	v_lshrrev_b32_e32 v63, 16, v38
	v_mul_f16_sdwa v64, v8, v38 dst_sel:DWORD dst_unused:UNUSED_PAD src0_sel:WORD_1 src1_sel:DWORD
	v_mul_f16_sdwa v65, v9, v86 dst_sel:DWORD dst_unused:UNUSED_PAD src0_sel:WORD_1 src1_sel:DWORD
	v_mul_f16_sdwa v77, v9, v47 dst_sel:DWORD dst_unused:UNUSED_PAD src0_sel:WORD_1 src1_sel:DWORD
	v_lshrrev_b32_e32 v78, 16, v48
	v_mul_f16_sdwa v76, v8, v63 dst_sel:DWORD dst_unused:UNUSED_PAD src0_sel:WORD_1 src1_sel:DWORD
	v_fma_f16 v63, v8, v63, -v64
	v_fmac_f16_e32 v65, v9, v47
	v_fma_f16 v47, v9, v86, -v77
	v_mul_f16_sdwa v64, v10, v78 dst_sel:DWORD dst_unused:UNUSED_PAD src0_sel:WORD_1 src1_sel:DWORD
	v_fmac_f16_e32 v76, v8, v38
	v_mul_f16_sdwa v8, v10, v48 dst_sel:DWORD dst_unused:UNUSED_PAD src0_sel:WORD_1 src1_sel:DWORD
	v_mul_f16_sdwa v38, v11, v85 dst_sel:DWORD dst_unused:UNUSED_PAD src0_sel:WORD_1 src1_sel:DWORD
	;; [unrolled: 1-line block ×3, first 2 shown]
	v_lshrrev_b32_e32 v77, 16, v46
	v_fmac_f16_e32 v64, v10, v48
	v_fma_f16 v48, v10, v78, -v8
	v_fmac_f16_e32 v38, v11, v45
	v_fma_f16 v10, v11, v85, -v9
	v_mul_f16_sdwa v11, v4, v77 dst_sel:DWORD dst_unused:UNUSED_PAD src0_sel:WORD_1 src1_sel:DWORD
	v_mul_f16_sdwa v8, v4, v46 dst_sel:DWORD dst_unused:UNUSED_PAD src0_sel:WORD_1 src1_sel:DWORD
	;; [unrolled: 1-line block ×4, first 2 shown]
	v_lshrrev_b32_e32 v78, 16, v44
	v_fmac_f16_e32 v11, v4, v46
	v_fma_f16 v46, v4, v77, -v8
	v_fmac_f16_e32 v45, v5, v43
	v_fma_f16 v43, v5, v66, -v9
	v_mul_f16_sdwa v66, v6, v78 dst_sel:DWORD dst_unused:UNUSED_PAD src0_sel:WORD_1 src1_sel:DWORD
	v_lshrrev_b32_e32 v8, 16, v42
	v_mul_f16_sdwa v4, v6, v44 dst_sel:DWORD dst_unused:UNUSED_PAD src0_sel:WORD_1 src1_sel:DWORD
	v_mul_f16_sdwa v9, v0, v42 dst_sel:DWORD dst_unused:UNUSED_PAD src0_sel:WORD_1 src1_sel:DWORD
	;; [unrolled: 1-line block ×3, first 2 shown]
	v_fmac_f16_e32 v66, v6, v44
	v_mul_f16_sdwa v44, v0, v8 dst_sel:DWORD dst_unused:UNUSED_PAD src0_sel:WORD_1 src1_sel:DWORD
	v_fma_f16 v78, v6, v78, -v4
	v_mul_f16_sdwa v4, v3, v73 dst_sel:DWORD dst_unused:UNUSED_PAD src0_sel:WORD_1 src1_sel:DWORD
	v_mul_f16_sdwa v6, v3, v74 dst_sel:DWORD dst_unused:UNUSED_PAD src0_sel:WORD_1 src1_sel:DWORD
	;; [unrolled: 1-line block ×3, first 2 shown]
	v_fmac_f16_e32 v44, v0, v42
	v_fma_f16 v0, v0, v8, -v9
	v_fma_f16 v4, v3, v74, -v4
	v_fmac_f16_e32 v6, v3, v73
	v_mul_f16_sdwa v3, v2, v79 dst_sel:DWORD dst_unused:UNUSED_PAD src0_sel:WORD_1 src1_sel:DWORD
	v_mul_f16_sdwa v8, v2, v40 dst_sel:DWORD dst_unused:UNUSED_PAD src0_sel:WORD_1 src1_sel:DWORD
	v_fmac_f16_e32 v77, v7, v41
	v_fma_f16 v5, v7, v84, -v5
	v_mul_f16_sdwa v7, v1, v80 dst_sel:DWORD dst_unused:UNUSED_PAD src0_sel:WORD_1 src1_sel:DWORD
	v_sub_f16_e32 v83, v63, v4
	v_add_f16_e32 v90, v4, v63
	v_fmac_f16_e32 v3, v2, v40
	v_fma_f16 v2, v2, v79, -v8
	v_mul_f16_sdwa v41, v1, v39 dst_sel:DWORD dst_unused:UNUSED_PAD src0_sel:WORD_1 src1_sel:DWORD
	v_fmac_f16_e32 v7, v1, v39
	v_add_f16_e32 v39, v6, v76
	v_mul_f16_e32 v92, 0xba95, v83
	v_sub_f16_e32 v42, v76, v6
	v_mul_f16_e32 v96, 0x388b, v90
	v_sub_f16_e32 v86, v47, v2
	v_add_f16_e32 v95, v2, v47
	v_fma_f16 v1, v1, v80, -v41
	v_fma_f16 v9, v39, 0x388b, -v92
	v_mul_f16_e32 v100, 0xbbf1, v83
	v_mul_f16_e32 v106, 0x2fb7, v90
	v_fmamk_f16 v8, v42, 0xba95, v96
	v_mul_f16_e32 v111, 0xbb7b, v83
	v_add_f16_e32 v79, v3, v65
	v_mul_f16_e32 v97, 0xbb7b, v86
	v_sub_f16_e32 v80, v65, v3
	v_mul_f16_e32 v101, 0xb5ac, v95
	v_add_f16_e32 v9, v37, v9
	v_fma_f16 v40, v39, 0x2fb7, -v100
	v_fmamk_f16 v41, v42, 0xbbf1, v106
	v_add_f16_e32 v8, v75, v8
	v_mul_f16_e32 v118, 0xb5ac, v90
	v_fma_f16 v73, v39, 0xb5ac, -v111
	v_mul_f16_e32 v109, 0xb3a8, v86
	v_fma_f16 v81, v79, 0xb5ac, -v97
	v_mul_f16_e32 v112, 0xbbc4, v95
	v_mul_f16_e32 v119, 0x394e, v86
	v_fmamk_f16 v82, v80, 0xbb7b, v101
	v_add_f16_e32 v99, v1, v48
	v_add_f16_e32 v40, v37, v40
	;; [unrolled: 1-line block ×3, first 2 shown]
	v_fmamk_f16 v74, v42, 0xbb7b, v118
	v_add_f16_e32 v73, v37, v73
	v_fma_f16 v84, v79, 0xbbc4, -v109
	v_add_f16_e32 v9, v81, v9
	v_fmamk_f16 v81, v80, 0xb3a8, v112
	v_fma_f16 v85, v79, 0xb9fd, -v119
	v_add_f16_e32 v8, v82, v8
	v_mul_f16_e32 v125, 0xb9fd, v95
	v_sub_f16_e32 v89, v48, v1
	v_sub_f16_e32 v82, v64, v7
	v_mul_f16_e32 v107, 0xbbc4, v99
	v_add_f16_e32 v74, v75, v74
	v_add_f16_e32 v40, v84, v40
	;; [unrolled: 1-line block ×4, first 2 shown]
	v_fmamk_f16 v84, v80, 0x394e, v125
	v_add_f16_e32 v81, v7, v64
	v_mul_f16_e32 v102, 0xb3a8, v89
	v_mul_f16_e32 v117, 0xb5ac, v99
	v_fmamk_f16 v85, v82, 0xb3a8, v107
	v_add_f16_e32 v105, v0, v10
	v_mul_f16_e32 v115, 0x3b7b, v89
	v_add_f16_e32 v74, v84, v74
	v_fma_f16 v84, v81, 0xbbc4, -v102
	v_mul_f16_e32 v122, 0x3770, v89
	v_fmamk_f16 v88, v82, 0x3b7b, v117
	v_add_f16_e32 v8, v85, v8
	v_sub_f16_e32 v85, v38, v44
	v_mul_f16_e32 v124, 0x3b15, v105
	v_fma_f16 v87, v81, 0xb5ac, -v115
	v_add_f16_e32 v9, v84, v9
	v_fma_f16 v84, v81, 0x3b15, -v122
	v_add_f16_e32 v41, v88, v41
	v_mul_f16_e32 v128, 0x3b15, v99
	v_sub_f16_e32 v93, v10, v0
	v_fmamk_f16 v98, v85, 0x3770, v124
	v_add_f16_e32 v40, v87, v40
	v_add_f16_e32 v73, v84, v73
	v_add_f16_e32 v84, v44, v38
	v_mul_f16_e32 v110, 0x394e, v93
	v_mul_f16_e32 v113, 0xb9fd, v105
	v_fmamk_f16 v87, v82, 0x3770, v128
	v_add_f16_e32 v41, v98, v41
	v_sub_f16_e32 v98, v46, v5
	v_mul_f16_e32 v120, 0x3770, v93
	v_fma_f16 v88, v84, 0xb9fd, -v110
	v_fmamk_f16 v91, v85, 0x394e, v113
	v_add_f16_e32 v74, v87, v74
	v_mul_f16_e32 v127, 0xbbf1, v93
	v_add_f16_e32 v104, v5, v46
	v_add_f16_e32 v87, v77, v11
	v_mul_f16_e32 v114, 0x3bf1, v98
	v_fma_f16 v94, v84, 0x3b15, -v120
	v_add_f16_e32 v9, v88, v9
	v_add_f16_e32 v8, v91, v8
	v_mul_f16_e32 v133, 0x2fb7, v105
	v_sub_f16_e32 v88, v11, v77
	v_mul_f16_e32 v116, 0x2fb7, v104
	v_fma_f16 v91, v84, 0x2fb7, -v127
	v_mul_f16_e32 v126, 0xba95, v98
	v_fma_f16 v103, v87, 0x2fb7, -v114
	v_add_f16_e32 v40, v94, v40
	v_fmamk_f16 v94, v85, 0xbbf1, v133
	v_fmamk_f16 v108, v88, 0x3bf1, v116
	v_add_f16_e32 v73, v91, v73
	v_fma_f16 v91, v87, 0x388b, -v126
	v_add_f16_e32 v9, v103, v9
	v_mul_f16_e32 v129, 0x388b, v104
	v_sub_f16_e32 v103, v43, v78
	v_mul_f16_e32 v132, 0x33a8, v98
	v_mul_f16_e32 v135, 0xbbc4, v104
	v_add_f16_e32 v74, v94, v74
	v_add_f16_e32 v8, v108, v8
	;; [unrolled: 1-line block ×3, first 2 shown]
	v_fmamk_f16 v40, v88, 0xba95, v129
	v_add_f16_e32 v91, v66, v45
	v_mul_f16_e32 v121, 0x3770, v103
	v_fma_f16 v94, v87, 0xbbc4, -v132
	v_fmamk_f16 v123, v88, 0x33a8, v135
	v_add_f16_e32 v108, v78, v43
	v_add_f16_e32 v138, v40, v41
	v_fma_f16 v40, v91, 0x3b15, -v121
	v_add_f16_e32 v139, v94, v73
	v_add_f16_e32 v140, v123, v74
	v_sub_f16_e32 v94, v45, v66
	v_mul_f16_e32 v123, 0x3b15, v108
	v_mul_f16_e32 v130, 0xb94e, v103
	v_mul_f16_e32 v131, 0xb9fd, v108
	v_mul_f16_e32 v134, 0x3a95, v103
	v_mul_f16_e32 v136, 0x388b, v108
	v_add_f16_e32 v40, v40, v9
	v_fmamk_f16 v9, v94, 0x3770, v123
	v_fma_f16 v73, v91, 0xb9fd, -v130
	v_fmamk_f16 v141, v94, 0xb94e, v131
	v_fma_f16 v142, v91, 0x388b, -v134
	v_fmamk_f16 v143, v94, 0x3a95, v136
	v_add_f16_e32 v41, v9, v8
	v_add_f16_e32 v74, v73, v137
	;; [unrolled: 1-line block ×5, first 2 shown]
	s_barrier
	buffer_gl0_inv
	s_and_saveexec_b32 s1, s0
	s_cbranch_execz .LBB0_17
; %bb.16:
	v_mul_f16_e32 v163, 0xb94e, v42
	v_mul_f16_e32 v169, 0x3bf1, v80
	;; [unrolled: 1-line block ×5, first 2 shown]
	v_fmamk_f16 v168, v90, 0xb9fd, v163
	v_fmamk_f16 v173, v95, 0x2fb7, v169
	v_mul_f16_e32 v139, 0x2fb7, v39
	v_fma_f16 v180, v39, 0xb9fd, -v177
	v_mul_f16_e32 v181, 0x3bf1, v86
	v_add_f16_e32 v168, v75, v168
	v_mul_f16_e32 v182, 0x3770, v88
	v_mul_f16_e32 v137, 0x388b, v39
	;; [unrolled: 1-line block ×4, first 2 shown]
	v_add_f16_e32 v168, v173, v168
	v_fmamk_f16 v173, v99, 0x388b, v174
	v_add_f16_e32 v100, v139, v100
	v_add_f16_e32 v180, v37, v180
	v_fma_f16 v183, v79, 0x2fb7, -v181
	v_mul_f16_e32 v184, 0xba95, v89
	v_add_f16_e32 v168, v173, v168
	v_fmamk_f16 v173, v105, 0xbbc4, v178
	v_mul_f16_e32 v185, 0xbb7b, v94
	v_add_f16_e32 v76, v37, v76
	v_mul_f16_e32 v143, 0xb5ac, v79
	v_mul_f16_e32 v144, 0xbb7b, v80
	v_add_f16_e32 v168, v173, v168
	v_fmamk_f16 v173, v104, 0x3b15, v182
	v_mul_f16_e32 v151, 0xb5ac, v81
	v_add_f16_e32 v100, v37, v100
	v_add_f16_e32 v109, v145, v109
	v_sub_f16_e32 v96, v96, v138
	v_add_f16_e32 v92, v137, v92
	v_add_f16_e32 v180, v183, v180
	v_fma_f16 v183, v81, 0x388b, -v184
	v_mul_f16_e32 v186, 0x33a8, v93
	v_add_f16_e32 v168, v173, v168
	v_fmamk_f16 v173, v108, 0xb5ac, v185
	v_mul_f16_e32 v187, 0xb3a8, v42
	v_add_f16_e32 v65, v65, v76
	v_mul_f16_e32 v149, 0xbbc4, v81
	v_mul_f16_e32 v150, 0xb3a8, v82
	;; [unrolled: 1-line block ×3, first 2 shown]
	v_add_f16_e32 v100, v109, v100
	v_add_f16_e32 v109, v151, v115
	;; [unrolled: 1-line block ×3, first 2 shown]
	v_sub_f16_e32 v101, v101, v144
	v_add_f16_e32 v92, v37, v92
	v_add_f16_e32 v97, v143, v97
	;; [unrolled: 1-line block ×4, first 2 shown]
	v_fma_f16 v183, v84, 0xbbc4, -v186
	v_mul_f16_e32 v188, 0x3770, v98
	v_add_f16_e32 v168, v173, v168
	v_fmamk_f16 v173, v90, 0xbbc4, v187
	v_mul_f16_e32 v189, 0x3770, v80
	v_add_f16_e32 v64, v64, v65
	v_mul_f16_e32 v155, 0xb9fd, v84
	v_mul_f16_e32 v156, 0x394e, v85
	;; [unrolled: 1-line block ×3, first 2 shown]
	v_add_f16_e32 v100, v109, v100
	v_add_f16_e32 v109, v157, v120
	;; [unrolled: 1-line block ×3, first 2 shown]
	v_sub_f16_e32 v101, v107, v150
	v_add_f16_e32 v92, v97, v92
	v_add_f16_e32 v97, v149, v102
	;; [unrolled: 1-line block ×4, first 2 shown]
	v_fma_f16 v183, v87, 0x3b15, -v188
	v_mul_f16_e32 v190, 0xbb7b, v103
	v_add_f16_e32 v173, v75, v173
	v_fmamk_f16 v191, v95, 0x3b15, v189
	v_mul_f16_e32 v192, 0xb94e, v82
	v_add_f16_e32 v38, v38, v64
	v_mul_f16_e32 v161, 0x2fb7, v87
	v_mul_f16_e32 v172, 0xb9fd, v91
	v_fma_f16 v187, v90, 0xbbc4, -v187
	v_fma_f16 v163, v90, 0xb9fd, -v163
	v_add_f16_e32 v100, v109, v100
	v_add_f16_e32 v109, v164, v126
	;; [unrolled: 1-line block ×3, first 2 shown]
	v_sub_f16_e32 v101, v113, v156
	v_mul_f16_e32 v90, 0x3b15, v90
	v_add_f16_e32 v92, v97, v92
	v_add_f16_e32 v97, v155, v110
	;; [unrolled: 1-line block ×4, first 2 shown]
	v_fma_f16 v183, v91, 0xb5ac, -v190
	v_mul_f16_e32 v193, 0xb3a8, v83
	v_add_f16_e32 v173, v191, v173
	v_fmamk_f16 v191, v99, 0xb9fd, v192
	v_mul_f16_e32 v194, 0x3a95, v85
	v_add_f16_e32 v11, v11, v38
	v_mul_f16_e32 v162, 0x3bf1, v88
	v_mul_f16_e32 v170, 0x3b15, v91
	v_add_f16_e32 v187, v75, v187
	v_fma_f16 v189, v95, 0x3b15, -v189
	v_add_f16_e32 v163, v75, v163
	v_fma_f16 v169, v95, 0x2fb7, -v169
	v_add_f16_e32 v100, v109, v100
	v_add_f16_e32 v107, v172, v130
	;; [unrolled: 1-line block ×3, first 2 shown]
	v_fmamk_f16 v101, v42, 0x3770, v90
	v_mul_f16_e32 v95, 0x388b, v95
	v_add_f16_e32 v92, v97, v92
	v_add_f16_e32 v97, v161, v114
	;; [unrolled: 1-line block ×4, first 2 shown]
	v_fma_f16 v183, v39, 0xbbc4, -v193
	v_mul_f16_e32 v195, 0x3770, v86
	v_add_f16_e32 v173, v191, v173
	v_fmamk_f16 v191, v105, 0x388b, v194
	v_mul_f16_e32 v196, 0xbb7b, v88
	v_add_f16_e32 v11, v45, v11
	v_add_f16_e32 v187, v189, v187
	v_fma_f16 v189, v99, 0xb9fd, -v192
	v_add_f16_e32 v163, v169, v163
	v_fma_f16 v169, v99, 0x388b, -v174
	v_add_f16_e32 v100, v107, v100
	v_sub_f16_e32 v102, v116, v162
	v_add_f16_e32 v101, v75, v101
	v_fmamk_f16 v107, v80, 0x3a95, v95
	v_mul_f16_e32 v99, 0x2fb7, v99
	v_add_f16_e32 v92, v97, v92
	v_add_f16_e32 v97, v170, v121
	v_mul_f16_e32 v83, 0xb770, v83
	v_add_f16_e32 v10, v46, v10
	v_mul_f16_e32 v140, 0xbbf1, v42
	v_add_f16_e32 v183, v37, v183
	v_fma_f16 v197, v79, 0x3b15, -v195
	v_mul_f16_e32 v198, 0xb94e, v89
	v_add_f16_e32 v173, v191, v173
	v_fmamk_f16 v191, v104, 0xb5ac, v196
	v_mul_f16_e32 v199, 0x3bf1, v94
	v_add_f16_e32 v11, v66, v11
	v_mul_f16_e32 v141, 0xb5ac, v39
	v_mul_f16_e32 v142, 0xbb7b, v42
	v_add_f16_e32 v187, v189, v187
	v_fma_f16 v189, v105, 0x388b, -v194
	v_add_f16_e32 v163, v169, v163
	v_fma_f16 v169, v105, 0xbbc4, -v178
	v_add_f16_e32 v96, v102, v96
	v_add_f16_e32 v101, v107, v101
	v_fmamk_f16 v102, v82, 0x3bf1, v99
	v_mul_f16_e32 v105, 0xb5ac, v105
	v_add_f16_e32 v92, v97, v92
	v_fmamk_f16 v97, v39, 0x3b15, v83
	v_mul_f16_e32 v86, 0xba95, v86
	v_add_f16_e32 v10, v43, v10
	v_mul_f16_e32 v146, 0xb3a8, v80
	v_add_f16_e32 v183, v197, v183
	v_fma_f16 v197, v81, 0xb9fd, -v198
	v_mul_f16_e32 v200, 0x3a95, v93
	v_add_f16_e32 v173, v191, v173
	v_fmamk_f16 v191, v108, 0x2fb7, v199
	v_sub_f16_e32 v106, v106, v140
	v_add_f16_e32 v11, v77, v11
	v_mul_f16_e32 v147, 0xb9fd, v79
	v_mul_f16_e32 v148, 0x394e, v80
	v_fmac_f16_e32 v177, 0xb9fd, v39
	v_sub_f16_e32 v118, v118, v142
	v_add_f16_e32 v111, v141, v111
	v_add_f16_e32 v101, v102, v101
	v_fmamk_f16 v102, v85, 0x3b7b, v105
	v_add_f16_e32 v76, v37, v97
	v_fmamk_f16 v97, v79, 0x388b, v86
	v_mul_f16_e32 v89, 0xbbf1, v89
	v_add_f16_e32 v10, v78, v10
	v_mul_f16_e32 v152, 0x3b7b, v82
	v_add_f16_e32 v183, v197, v183
	v_fma_f16 v197, v84, 0x388b, -v200
	v_add_f16_e32 v173, v191, v173
	v_mul_f16_e32 v191, 0xbb7b, v98
	v_fmac_f16_e32 v193, 0xbbc4, v39
	v_add_f16_e32 v106, v75, v106
	v_sub_f16_e32 v112, v112, v146
	v_fmac_f16_e32 v90, 0xb770, v42
	v_add_f16_e32 v11, v44, v11
	v_fma_f16 v39, v39, 0x3b15, -v83
	v_mul_f16_e32 v153, 0x3b15, v81
	v_mul_f16_e32 v154, 0x3770, v82
	v_add_f16_e32 v177, v37, v177
	v_fmac_f16_e32 v181, 0x2fb7, v79
	v_add_f16_e32 v118, v75, v118
	v_sub_f16_e32 v125, v125, v148
	v_add_f16_e32 v111, v37, v111
	v_add_f16_e32 v119, v147, v119
	;; [unrolled: 1-line block ×3, first 2 shown]
	v_mul_f16_e32 v102, 0xb9fd, v104
	v_add_f16_e32 v63, v97, v76
	v_fmamk_f16 v76, v81, 0x2fb7, v89
	v_mul_f16_e32 v64, 0xbb7b, v93
	v_add_f16_e32 v5, v5, v10
	v_mul_f16_e32 v158, 0x3770, v85
	v_add_f16_e32 v183, v197, v183
	v_fma_f16 v192, v87, 0xb5ac, -v191
	v_mul_f16_e32 v197, 0x3bf1, v103
	v_add_f16_e32 v193, v37, v193
	v_fmac_f16_e32 v195, 0x3b15, v79
	v_add_f16_e32 v106, v112, v106
	v_sub_f16_e32 v112, v117, v152
	v_add_f16_e32 v10, v75, v90
	v_fmac_f16_e32 v95, 0xba95, v80
	v_add_f16_e32 v7, v7, v11
	v_add_f16_e32 v11, v37, v39
	v_fma_f16 v37, v79, 0x388b, -v86
	v_mul_f16_e32 v159, 0x2fb7, v84
	v_mul_f16_e32 v160, 0xbbf1, v85
	v_add_f16_e32 v142, v181, v177
	v_fmac_f16_e32 v184, 0x388b, v81
	v_add_f16_e32 v118, v125, v118
	v_sub_f16_e32 v125, v128, v154
	v_add_f16_e32 v111, v119, v111
	v_add_f16_e32 v119, v153, v122
	v_fmamk_f16 v65, v88, 0x394e, v102
	v_add_f16_e32 v63, v76, v63
	v_fmamk_f16 v38, v84, 0xb5ac, v64
	v_mul_f16_e32 v47, 0xb94e, v98
	v_add_f16_e32 v0, v0, v5
	v_mul_f16_e32 v165, 0xba95, v88
	v_add_f16_e32 v183, v192, v183
	v_fma_f16 v192, v91, 0x2fb7, -v197
	v_add_f16_e32 v193, v195, v193
	v_fmac_f16_e32 v198, 0xb9fd, v81
	v_add_f16_e32 v106, v112, v106
	v_sub_f16_e32 v112, v124, v158
	v_add_f16_e32 v5, v95, v10
	v_fmac_f16_e32 v99, 0xbbf1, v82
	v_add_f16_e32 v3, v3, v7
	v_add_f16_e32 v7, v37, v11
	v_fma_f16 v10, v81, 0x2fb7, -v89
	v_mul_f16_e32 v166, 0xbbc4, v87
	v_mul_f16_e32 v167, 0x33a8, v88
	v_add_f16_e32 v142, v184, v142
	v_fmac_f16_e32 v186, 0xbbc4, v84
	v_add_f16_e32 v118, v125, v118
	v_sub_f16_e32 v125, v133, v160
	v_add_f16_e32 v111, v119, v111
	v_add_f16_e32 v119, v159, v127
	v_add_f16_e32 v48, v65, v101
	v_mul_f16_e32 v65, 0xbbc4, v108
	v_add_f16_e32 v38, v38, v63
	v_fmamk_f16 v45, v87, 0xb9fd, v47
	v_mul_f16_e32 v46, 0xb3a8, v103
	v_add_f16_e32 v0, v1, v0
	v_mul_f16_e32 v171, 0x3770, v94
	v_mul_f16_e32 v175, 0xb94e, v94
	v_add_f16_e32 v183, v192, v183
	v_add_f16_e32 v192, v198, v193
	v_fmac_f16_e32 v200, 0x388b, v84
	v_add_f16_e32 v106, v112, v106
	v_sub_f16_e32 v112, v129, v165
	v_add_f16_e32 v1, v99, v5
	v_fmac_f16_e32 v105, 0xbb7b, v85
	v_add_f16_e32 v3, v6, v3
	v_add_f16_e32 v5, v10, v7
	v_fma_f16 v6, v84, 0xb5ac, -v64
	v_mul_f16_e32 v176, 0x388b, v91
	v_mul_f16_e32 v179, 0x3a95, v94
	v_add_f16_e32 v163, v169, v163
	v_fma_f16 v169, v104, 0x3b15, -v182
	v_add_f16_e32 v128, v186, v142
	v_fmac_f16_e32 v188, 0x3b15, v87
	v_add_f16_e32 v118, v125, v118
	v_sub_f16_e32 v125, v135, v167
	v_add_f16_e32 v111, v119, v111
	v_add_f16_e32 v117, v166, v132
	v_fmamk_f16 v63, v94, 0x33a8, v65
	v_add_f16_e32 v38, v45, v38
	v_fmamk_f16 v43, v91, 0xbbc4, v46
	v_add_f16_e32 v0, v2, v0
	v_mul_u32_u24_e32 v2, 26, v62
	v_add_f16_e32 v187, v189, v187
	v_fma_f16 v189, v104, 0xb5ac, -v196
	v_add_f16_e32 v192, v200, v192
	v_fmac_f16_e32 v191, 0xb5ac, v87
	v_add_f16_e32 v106, v112, v106
	v_sub_f16_e32 v112, v131, v175
	v_sub_f16_e32 v107, v123, v171
	v_add_f16_e32 v1, v105, v1
	v_fmac_f16_e32 v102, 0xb94e, v88
	v_add_f16_e32 v5, v6, v5
	v_fma_f16 v6, v87, 0xb9fd, -v47
	v_add_f16_e32 v148, v169, v163
	v_fma_f16 v163, v108, 0xb5ac, -v185
	v_add_f16_e32 v128, v188, v128
	v_fmac_f16_e32 v190, 0xb5ac, v91
	v_add_f16_e32 v118, v125, v118
	v_sub_f16_e32 v125, v136, v179
	v_add_f16_e32 v111, v117, v111
	v_add_f16_e32 v115, v176, v134
	;; [unrolled: 1-line block ×5, first 2 shown]
	v_or_b32_e32 v2, v2, v61
	v_add_f16_e32 v187, v189, v187
	v_fma_f16 v189, v108, 0x2fb7, -v199
	v_add_f16_e32 v174, v191, v192
	v_fmac_f16_e32 v197, 0x2fb7, v91
	v_add_f16_e32 v106, v112, v106
	v_add_f16_e32 v96, v107, v96
	;; [unrolled: 1-line block ×3, first 2 shown]
	v_fmac_f16_e32 v65, 0xb3a8, v94
	v_add_f16_e32 v4, v6, v5
	v_fma_f16 v5, v91, 0xbbc4, -v46
	v_add_f16_e32 v141, v163, v148
	v_add_f16_e32 v122, v190, v128
	;; [unrolled: 1-line block ×3, first 2 shown]
	v_lshlrev_b32_e32 v2, 2, v2
	v_pack_b32_f16 v0, v3, v0
	v_pack_b32_f16 v3, v38, v45
	v_add_f16_e32 v10, v115, v111
	v_add_f16_e32 v187, v189, v187
	;; [unrolled: 1-line block ×3, first 2 shown]
	v_pack_b32_f16 v6, v92, v96
	v_pack_b32_f16 v7, v100, v106
	v_add_f16_e32 v1, v65, v1
	v_add_f16_e32 v4, v5, v4
	ds_write2_b32 v2, v0, v3 offset1:2
	ds_write2_b32 v2, v6, v7 offset0:4 offset1:6
	v_pack_b32_f16 v0, v10, v118
	v_pack_b32_f16 v3, v122, v141
	;; [unrolled: 1-line block ×5, first 2 shown]
	v_perm_b32 v10, v9, v8, 0x5040100
	v_perm_b32 v11, v73, v74, 0x5040100
	;; [unrolled: 1-line block ×3, first 2 shown]
	v_pack_b32_f16 v1, v4, v1
	ds_write2_b32 v2, v0, v3 offset0:8 offset1:10
	ds_write2_b32 v2, v5, v6 offset0:12 offset1:14
	;; [unrolled: 1-line block ×4, first 2 shown]
	ds_write_b32 v2, v1 offset:96
.LBB0_17:
	s_or_b32 exec_lo, exec_lo, s1
	v_add_nc_u32_e32 v0, 0x300, v51
	v_add_nc_u32_e32 v4, 0xc00, v51
	;; [unrolled: 1-line block ×3, first 2 shown]
	s_waitcnt lgkmcnt(0)
	s_barrier
	buffer_gl0_inv
	ds_read2_b32 v[2:3], v51 offset1:117
	ds_read2_b32 v[0:1], v0 offset0:42 offset1:198
	ds_read2_b32 v[6:7], v4 offset0:12 offset1:129
	;; [unrolled: 1-line block ×3, first 2 shown]
	ds_read_b32 v10, v51 offset:4056
	s_and_saveexec_b32 s0, vcc_lo
	s_cbranch_execz .LBB0_19
; %bb.18:
	ds_read_b32 v8, v51 offset:1404
	ds_read_b32 v74, v51 offset:2964
	;; [unrolled: 1-line block ×3, first 2 shown]
	s_waitcnt lgkmcnt(2)
	v_lshrrev_b32_e32 v9, 16, v8
	s_waitcnt lgkmcnt(1)
	v_lshrrev_b32_e32 v73, 16, v74
	;; [unrolled: 2-line block ×3, first 2 shown]
.LBB0_19:
	s_or_b32 exec_lo, exec_lo, s0
	s_waitcnt lgkmcnt(2)
	v_lshrrev_b32_e32 v38, 16, v6
	v_lshrrev_b32_e32 v11, 16, v1
	s_waitcnt lgkmcnt(1)
	v_lshrrev_b32_e32 v42, 16, v4
	v_lshrrev_b32_e32 v43, 16, v7
	;; [unrolled: 1-line block ×3, first 2 shown]
	v_mul_f16_sdwa v48, v28, v38 dst_sel:DWORD dst_unused:UNUSED_PAD src0_sel:WORD_1 src1_sel:DWORD
	v_mul_f16_sdwa v46, v27, v11 dst_sel:DWORD dst_unused:UNUSED_PAD src0_sel:WORD_1 src1_sel:DWORD
	;; [unrolled: 1-line block ×4, first 2 shown]
	s_waitcnt lgkmcnt(0)
	v_lshrrev_b32_e32 v61, 16, v10
	v_fmac_f16_e32 v48, v28, v6
	v_mul_f16_sdwa v6, v25, v42 dst_sel:DWORD dst_unused:UNUSED_PAD src0_sel:WORD_1 src1_sel:DWORD
	v_fmac_f16_e32 v46, v27, v1
	v_fma_f16 v11, v27, v11, -v47
	v_fma_f16 v27, v28, v38, -v62
	v_mul_f16_sdwa v1, v25, v4 dst_sel:DWORD dst_unused:UNUSED_PAD src0_sel:WORD_1 src1_sel:DWORD
	v_mul_f16_sdwa v28, v26, v43 dst_sel:DWORD dst_unused:UNUSED_PAD src0_sel:WORD_1 src1_sel:DWORD
	v_mul_f16_sdwa v38, v26, v7 dst_sel:DWORD dst_unused:UNUSED_PAD src0_sel:WORD_1 src1_sel:DWORD
	v_fmac_f16_e32 v6, v25, v4
	v_mul_f16_sdwa v47, v23, v45 dst_sel:DWORD dst_unused:UNUSED_PAD src0_sel:WORD_1 src1_sel:DWORD
	v_mul_f16_sdwa v4, v23, v5 dst_sel:DWORD dst_unused:UNUSED_PAD src0_sel:WORD_1 src1_sel:DWORD
	v_fma_f16 v25, v25, v42, -v1
	v_fmac_f16_e32 v28, v26, v7
	v_fma_f16 v7, v26, v43, -v38
	v_fmac_f16_e32 v47, v23, v5
	v_mul_f16_sdwa v26, v24, v61 dst_sel:DWORD dst_unused:UNUSED_PAD src0_sel:WORD_1 src1_sel:DWORD
	v_mul_f16_sdwa v5, v24, v10 dst_sel:DWORD dst_unused:UNUSED_PAD src0_sel:WORD_1 src1_sel:DWORD
	;; [unrolled: 1-line block ×3, first 2 shown]
	v_fma_f16 v23, v23, v45, -v4
	v_mul_f16_sdwa v4, v21, v74 dst_sel:DWORD dst_unused:UNUSED_PAD src0_sel:WORD_1 src1_sel:DWORD
	v_lshrrev_b32_e32 v37, 16, v2
	v_fmac_f16_e32 v26, v24, v10
	v_fma_f16 v10, v24, v61, -v5
	v_fmac_f16_e32 v1, v21, v74
	v_add_f16_e32 v24, v46, v48
	v_fma_f16 v5, v21, v73, -v4
	v_mul_f16_sdwa v21, v22, v40 dst_sel:DWORD dst_unused:UNUSED_PAD src0_sel:WORD_1 src1_sel:DWORD
	v_mul_f16_sdwa v4, v22, v41 dst_sel:DWORD dst_unused:UNUSED_PAD src0_sel:WORD_1 src1_sel:DWORD
	v_add_f16_e32 v38, v2, v46
	v_fma_f16 v24, -0.5, v24, v2
	v_sub_f16_e32 v42, v11, v27
	v_fma_f16 v2, v22, v41, -v21
	v_add_f16_e32 v21, v11, v27
	v_add_f16_e32 v11, v37, v11
	v_fmac_f16_e32 v4, v22, v40
	v_add_f16_e32 v22, v6, v28
	v_lshrrev_b32_e32 v39, 16, v3
	v_fmamk_f16 v40, v42, 0xbaee, v24
	v_add_f16_e32 v27, v11, v27
	v_add_f16_e32 v11, v3, v6
	v_fmac_f16_e32 v24, 0x3aee, v42
	v_fmac_f16_e32 v37, -0.5, v21
	v_sub_f16_e32 v21, v46, v48
	v_fmac_f16_e32 v3, -0.5, v22
	v_sub_f16_e32 v22, v25, v7
	v_add_f16_e32 v42, v11, v28
	v_add_f16_e32 v11, v25, v7
	v_lshrrev_b32_e32 v44, 16, v0
	v_fmamk_f16 v41, v21, 0x3aee, v37
	v_fmac_f16_e32 v37, 0xbaee, v21
	v_fmamk_f16 v43, v22, 0xbaee, v3
	v_add_f16_e32 v21, v39, v25
	v_fmac_f16_e32 v3, 0x3aee, v22
	v_add_f16_e32 v22, v47, v26
	v_fmac_f16_e32 v39, -0.5, v11
	v_sub_f16_e32 v6, v6, v28
	v_add_f16_e32 v11, v0, v47
	v_add_f16_e32 v7, v21, v7
	v_fmac_f16_e32 v0, -0.5, v22
	v_sub_f16_e32 v21, v23, v10
	v_fmamk_f16 v25, v6, 0x3aee, v39
	v_fmac_f16_e32 v39, 0xbaee, v6
	v_add_f16_e32 v6, v11, v26
	v_add_f16_e32 v11, v44, v23
	;; [unrolled: 1-line block ×3, first 2 shown]
	v_fmamk_f16 v28, v21, 0xbaee, v0
	v_fmac_f16_e32 v0, 0x3aee, v21
	v_add_f16_e32 v21, v1, v4
	v_add_f16_e32 v23, v11, v10
	;; [unrolled: 1-line block ×3, first 2 shown]
	v_fmac_f16_e32 v44, -0.5, v22
	v_sub_f16_e32 v22, v47, v26
	v_add_f16_e32 v38, v38, v48
	v_fma_f16 v10, -0.5, v21, v8
	v_sub_f16_e32 v26, v5, v2
	v_fma_f16 v21, -0.5, v11, v9
	v_sub_f16_e32 v45, v1, v4
	v_fmamk_f16 v46, v22, 0x3aee, v44
	v_fmac_f16_e32 v44, 0xbaee, v22
	v_fmamk_f16 v11, v26, 0xbaee, v10
	v_fmac_f16_e32 v10, 0x3aee, v26
	v_fmamk_f16 v22, v45, 0x3aee, v21
	v_pack_b32_f16 v26, v38, v27
	v_pack_b32_f16 v27, v40, v41
	v_fmac_f16_e32 v21, 0xbaee, v45
	v_pack_b32_f16 v24, v24, v37
	v_pack_b32_f16 v7, v42, v7
	;; [unrolled: 1-line block ×7, first 2 shown]
	s_barrier
	buffer_gl0_inv
	ds_write2_b32 v70, v26, v27 offset1:26
	ds_write_b32 v70, v24 offset:208
	ds_write2_b32 v69, v7, v25 offset1:26
	ds_write_b32 v69, v3 offset:208
	;; [unrolled: 2-line block ×3, first 2 shown]
	s_and_saveexec_b32 s0, vcc_lo
	s_cbranch_execz .LBB0_21
; %bb.20:
	v_add_f16_e32 v0, v5, v9
	v_add_f16_e32 v1, v1, v8
	v_mov_b32_e32 v3, 2
	v_add_f16_e32 v0, v2, v0
	v_add_f16_e32 v1, v1, v4
	v_perm_b32 v2, v22, v11, 0x5040100
	v_lshlrev_b32_sdwa v3, v3, v67 dst_sel:DWORD dst_unused:UNUSED_PAD src0_sel:DWORD src1_sel:WORD_0
	v_pack_b32_f16 v0, v1, v0
	v_perm_b32 v1, v21, v10, 0x5040100
	ds_write2_b32 v3, v0, v2 offset1:26
	ds_write_b32 v3, v1 offset:208
.LBB0_21:
	s_or_b32 exec_lo, exec_lo, s0
	v_add_nc_u32_e32 v2, 0x200, v51
	v_add_nc_u32_e32 v8, 0x600, v51
	;; [unrolled: 1-line block ×4, first 2 shown]
	s_waitcnt lgkmcnt(0)
	s_barrier
	buffer_gl0_inv
	ds_read2_b32 v[0:1], v51 offset1:117
	ds_read2_b32 v[2:3], v2 offset0:106 offset1:223
	ds_read2_b32 v[4:5], v8 offset0:84 offset1:201
	;; [unrolled: 1-line block ×4, first 2 shown]
	s_waitcnt lgkmcnt(0)
	s_barrier
	buffer_gl0_inv
	v_lshrrev_b32_e32 v9, 16, v2
	v_lshrrev_b32_e32 v27, 16, v4
	;; [unrolled: 1-line block ×3, first 2 shown]
	v_mul_f16_sdwa v41, v16, v2 dst_sel:DWORD dst_unused:UNUSED_PAD src0_sel:WORD_1 src1_sel:DWORD
	v_mul_f16_sdwa v43, v17, v4 dst_sel:DWORD dst_unused:UNUSED_PAD src0_sel:WORD_1 src1_sel:DWORD
	v_lshrrev_b32_e32 v37, 16, v23
	v_lshrrev_b32_e32 v38, 16, v3
	;; [unrolled: 1-line block ×3, first 2 shown]
	v_mul_f16_sdwa v45, v16, v9 dst_sel:DWORD dst_unused:UNUSED_PAD src0_sel:WORD_1 src1_sel:DWORD
	v_fma_f16 v9, v16, v9, -v41
	v_mul_f16_sdwa v41, v17, v27 dst_sel:DWORD dst_unused:UNUSED_PAD src0_sel:WORD_1 src1_sel:DWORD
	v_fma_f16 v27, v17, v27, -v43
	v_mul_f16_sdwa v43, v18, v28 dst_sel:DWORD dst_unused:UNUSED_PAD src0_sel:WORD_1 src1_sel:DWORD
	v_lshrrev_b32_e32 v40, 16, v7
	v_mul_f16_sdwa v44, v18, v6 dst_sel:DWORD dst_unused:UNUSED_PAD src0_sel:WORD_1 src1_sel:DWORD
	v_mul_f16_sdwa v46, v19, v37 dst_sel:DWORD dst_unused:UNUSED_PAD src0_sel:WORD_1 src1_sel:DWORD
	v_fmac_f16_e32 v45, v16, v2
	v_fmac_f16_e32 v41, v17, v4
	;; [unrolled: 1-line block ×3, first 2 shown]
	v_mul_f16_sdwa v2, v19, v23 dst_sel:DWORD dst_unused:UNUSED_PAD src0_sel:WORD_1 src1_sel:DWORD
	v_mul_f16_sdwa v4, v12, v38 dst_sel:DWORD dst_unused:UNUSED_PAD src0_sel:WORD_1 src1_sel:DWORD
	;; [unrolled: 1-line block ×5, first 2 shown]
	v_lshrrev_b32_e32 v42, 16, v24
	v_fma_f16 v28, v18, v28, -v44
	v_fmac_f16_e32 v46, v19, v23
	v_fma_f16 v2, v19, v37, -v2
	v_fmac_f16_e32 v4, v12, v3
	;; [unrolled: 2-line block ×3, first 2 shown]
	v_fma_f16 v5, v13, v39, -v17
	v_add_f16_e32 v6, v41, v43
	v_mul_f16_sdwa v13, v14, v40 dst_sel:DWORD dst_unused:UNUSED_PAD src0_sel:WORD_1 src1_sel:DWORD
	v_mul_f16_sdwa v12, v14, v7 dst_sel:DWORD dst_unused:UNUSED_PAD src0_sel:WORD_1 src1_sel:DWORD
	v_add_f16_e32 v18, v0, v45
	v_lshrrev_b32_e32 v25, 16, v0
	v_mul_f16_sdwa v17, v15, v42 dst_sel:DWORD dst_unused:UNUSED_PAD src0_sel:WORD_1 src1_sel:DWORD
	v_fma_f16 v6, -0.5, v6, v0
	v_sub_f16_e32 v19, v9, v2
	v_fmac_f16_e32 v13, v14, v7
	v_fma_f16 v7, v14, v40, -v12
	v_add_f16_e32 v12, v18, v41
	v_add_f16_e32 v38, v45, v46
	v_fmac_f16_e32 v17, v15, v24
	v_fmamk_f16 v14, v19, 0xbb9c, v6
	v_sub_f16_e32 v18, v27, v28
	v_sub_f16_e32 v23, v45, v41
	;; [unrolled: 1-line block ×3, first 2 shown]
	v_mul_f16_sdwa v24, v15, v24 dst_sel:DWORD dst_unused:UNUSED_PAD src0_sel:WORD_1 src1_sel:DWORD
	v_add_f16_e32 v12, v12, v43
	v_fma_f16 v0, -0.5, v38, v0
	v_fmac_f16_e32 v6, 0x3b9c, v19
	v_add_f16_e32 v39, v25, v9
	v_fmac_f16_e32 v14, 0xb8b4, v18
	v_add_f16_e32 v23, v23, v37
	v_fma_f16 v15, v15, v42, -v24
	v_add_f16_e32 v24, v12, v46
	v_fmamk_f16 v37, v18, 0x3b9c, v0
	v_sub_f16_e32 v12, v41, v45
	v_sub_f16_e32 v38, v43, v46
	v_fmac_f16_e32 v6, 0x38b4, v18
	v_add_f16_e32 v40, v27, v28
	v_fmac_f16_e32 v0, 0xbb9c, v18
	v_add_f16_e32 v18, v39, v27
	;; [unrolled: 2-line block ×3, first 2 shown]
	v_fma_f16 v38, -0.5, v40, v25
	v_sub_f16_e32 v39, v45, v46
	v_fmac_f16_e32 v6, 0x34f2, v23
	v_add_f16_e32 v18, v18, v28
	v_add_f16_e32 v23, v9, v2
	v_fmac_f16_e32 v37, 0xb8b4, v19
	v_fmac_f16_e32 v0, 0x38b4, v19
	v_fmamk_f16 v19, v39, 0x3b9c, v38
	v_sub_f16_e32 v40, v41, v43
	v_sub_f16_e32 v41, v9, v27
	;; [unrolled: 1-line block ×3, first 2 shown]
	v_fmac_f16_e32 v25, -0.5, v23
	v_add_f16_e32 v18, v18, v2
	v_fmac_f16_e32 v38, 0xbb9c, v39
	v_sub_f16_e32 v9, v27, v9
	v_sub_f16_e32 v2, v28, v2
	v_add_f16_e32 v27, v16, v13
	v_fmac_f16_e32 v37, 0x34f2, v12
	v_fmac_f16_e32 v0, 0x34f2, v12
	;; [unrolled: 1-line block ×3, first 2 shown]
	v_add_f16_e32 v12, v41, v42
	v_fmamk_f16 v23, v40, 0xbb9c, v25
	v_fmac_f16_e32 v38, 0xb8b4, v40
	v_add_f16_e32 v2, v9, v2
	v_fmac_f16_e32 v25, 0x3b9c, v40
	v_add_f16_e32 v28, v1, v4
	v_fma_f16 v9, -0.5, v27, v1
	v_sub_f16_e32 v27, v3, v15
	v_fmac_f16_e32 v19, 0x34f2, v12
	v_fmac_f16_e32 v23, 0x38b4, v39
	;; [unrolled: 1-line block ×4, first 2 shown]
	v_add_f16_e32 v12, v28, v16
	v_fmamk_f16 v28, v27, 0xbb9c, v9
	v_sub_f16_e32 v39, v5, v7
	v_sub_f16_e32 v40, v4, v16
	;; [unrolled: 1-line block ×3, first 2 shown]
	v_fmac_f16_e32 v9, 0x3b9c, v27
	v_add_f16_e32 v42, v4, v17
	v_lshrrev_b32_e32 v26, 16, v1
	v_add_f16_e32 v12, v12, v13
	v_fmac_f16_e32 v28, 0xb8b4, v39
	v_add_f16_e32 v40, v40, v41
	v_fmac_f16_e32 v9, 0x38b4, v39
	v_fmac_f16_e32 v1, -0.5, v42
	v_sub_f16_e32 v41, v16, v4
	v_sub_f16_e32 v42, v13, v17
	v_fmac_f16_e32 v23, 0x34f2, v2
	v_fmac_f16_e32 v25, 0x34f2, v2
	v_add_f16_e32 v2, v12, v17
	v_fmac_f16_e32 v28, 0x34f2, v40
	v_fmac_f16_e32 v9, 0x34f2, v40
	v_fmamk_f16 v40, v39, 0x3b9c, v1
	v_add_f16_e32 v12, v5, v7
	v_fmac_f16_e32 v1, 0xbb9c, v39
	v_add_f16_e32 v39, v26, v3
	v_sub_f16_e32 v4, v4, v17
	v_add_f16_e32 v17, v41, v42
	v_add_f16_e32 v41, v3, v15
	v_fma_f16 v12, -0.5, v12, v26
	v_fmac_f16_e32 v40, 0xb8b4, v27
	v_fmac_f16_e32 v1, 0x38b4, v27
	v_add_f16_e32 v27, v39, v5
	v_sub_f16_e32 v13, v16, v13
	v_fmac_f16_e32 v26, -0.5, v41
	v_fmamk_f16 v39, v4, 0x3b9c, v12
	v_fmac_f16_e32 v40, 0x34f2, v17
	v_fmac_f16_e32 v1, 0x34f2, v17
	v_add_f16_e32 v16, v27, v7
	v_sub_f16_e32 v17, v3, v5
	v_sub_f16_e32 v27, v15, v7
	v_fmac_f16_e32 v12, 0xbb9c, v4
	v_fmamk_f16 v41, v13, 0xbb9c, v26
	v_sub_f16_e32 v3, v5, v3
	v_sub_f16_e32 v5, v7, v15
	v_fmac_f16_e32 v26, 0x3b9c, v13
	v_fmac_f16_e32 v39, 0x38b4, v13
	v_add_f16_e32 v7, v17, v27
	v_fmac_f16_e32 v12, 0xb8b4, v13
	v_fmac_f16_e32 v41, 0x38b4, v4
	v_add_f16_e32 v3, v3, v5
	v_fmac_f16_e32 v26, 0xb8b4, v4
	v_fmac_f16_e32 v39, 0x34f2, v7
	;; [unrolled: 1-line block ×3, first 2 shown]
	v_pack_b32_f16 v4, v24, v18
	v_pack_b32_f16 v7, v14, v19
	v_add_f16_e32 v5, v16, v15
	v_fmac_f16_e32 v41, 0x34f2, v3
	v_fmac_f16_e32 v26, 0x34f2, v3
	v_pack_b32_f16 v3, v37, v23
	v_pack_b32_f16 v0, v0, v25
	ds_write2_b32 v71, v4, v7 offset1:78
	v_pack_b32_f16 v4, v6, v38
	v_pack_b32_f16 v2, v2, v5
	;; [unrolled: 1-line block ×6, first 2 shown]
	ds_write2_b32 v71, v3, v0 offset0:156 offset1:234
	ds_write_b32 v71, v4 offset:1248
	ds_write2_b32 v72, v2, v5 offset1:78
	ds_write2_b32 v72, v6, v1 offset0:156 offset1:234
	ds_write_b32 v72, v7 offset:1248
	v_add_nc_u32_e32 v0, 0x300, v51
	v_add_nc_u32_e32 v4, 0xc00, v51
	s_waitcnt lgkmcnt(0)
	s_barrier
	buffer_gl0_inv
	ds_read2_b32 v[2:3], v51 offset1:117
	ds_read2_b32 v[0:1], v0 offset0:42 offset1:198
	ds_read2_b32 v[6:7], v4 offset0:12 offset1:129
	;; [unrolled: 1-line block ×3, first 2 shown]
	ds_read_b32 v13, v51 offset:4056
	s_and_saveexec_b32 s0, vcc_lo
	s_cbranch_execz .LBB0_23
; %bb.22:
	ds_read_b32 v9, v51 offset:1404
	ds_read_b32 v11, v51 offset:2964
	;; [unrolled: 1-line block ×3, first 2 shown]
	s_waitcnt lgkmcnt(2)
	v_lshrrev_b32_e32 v12, 16, v9
	s_waitcnt lgkmcnt(1)
	v_lshrrev_b32_e32 v22, 16, v11
	s_waitcnt lgkmcnt(0)
	v_lshrrev_b32_e32 v21, 16, v10
.LBB0_23:
	s_or_b32 exec_lo, exec_lo, s0
	s_waitcnt lgkmcnt(3)
	v_lshrrev_b32_e32 v15, 16, v1
	s_waitcnt lgkmcnt(2)
	v_lshrrev_b32_e32 v16, 16, v6
	;; [unrolled: 2-line block ×3, first 2 shown]
	v_lshrrev_b32_e32 v19, 16, v7
	v_mul_f16_sdwa v26, v33, v1 dst_sel:DWORD dst_unused:UNUSED_PAD src0_sel:WORD_1 src1_sel:DWORD
	v_mul_f16_sdwa v24, v33, v15 dst_sel:DWORD dst_unused:UNUSED_PAD src0_sel:WORD_1 src1_sel:DWORD
	;; [unrolled: 1-line block ×3, first 2 shown]
	v_lshrrev_b32_e32 v25, 16, v5
	s_waitcnt lgkmcnt(0)
	v_lshrrev_b32_e32 v27, 16, v13
	v_fma_f16 v15, v33, v15, -v26
	v_fmac_f16_e32 v24, v33, v1
	v_mul_f16_sdwa v1, v34, v6 dst_sel:DWORD dst_unused:UNUSED_PAD src0_sel:WORD_1 src1_sel:DWORD
	v_mul_f16_sdwa v26, v31, v18 dst_sel:DWORD dst_unused:UNUSED_PAD src0_sel:WORD_1 src1_sel:DWORD
	v_fmac_f16_e32 v28, v34, v6
	v_mul_f16_sdwa v6, v31, v4 dst_sel:DWORD dst_unused:UNUSED_PAD src0_sel:WORD_1 src1_sel:DWORD
	v_lshrrev_b32_e32 v14, 16, v2
	v_fma_f16 v1, v34, v16, -v1
	v_mul_f16_sdwa v16, v32, v19 dst_sel:DWORD dst_unused:UNUSED_PAD src0_sel:WORD_1 src1_sel:DWORD
	v_fmac_f16_e32 v26, v31, v4
	v_mul_f16_sdwa v4, v32, v7 dst_sel:DWORD dst_unused:UNUSED_PAD src0_sel:WORD_1 src1_sel:DWORD
	v_fma_f16 v6, v31, v18, -v6
	v_mul_f16_sdwa v18, v35, v25 dst_sel:DWORD dst_unused:UNUSED_PAD src0_sel:WORD_1 src1_sel:DWORD
	v_fmac_f16_e32 v16, v32, v7
	v_mul_f16_sdwa v7, v35, v5 dst_sel:DWORD dst_unused:UNUSED_PAD src0_sel:WORD_1 src1_sel:DWORD
	;; [unrolled: 4-line block ×3, first 2 shown]
	v_fma_f16 v7, v35, v25, -v7
	v_add_f16_e32 v25, v24, v28
	v_fmac_f16_e32 v19, v36, v13
	v_add_f16_e32 v13, v2, v24
	v_fma_f16 v5, v36, v27, -v5
	v_add_f16_e32 v27, v15, v1
	v_fma_f16 v2, -0.5, v25, v2
	v_sub_f16_e32 v25, v15, v1
	v_add_f16_e32 v15, v14, v15
	v_add_f16_e32 v13, v13, v28
	v_fmac_f16_e32 v14, -0.5, v27
	v_sub_f16_e32 v24, v24, v28
	v_add_f16_e32 v28, v3, v26
	v_add_f16_e32 v1, v15, v1
	;; [unrolled: 1-line block ×3, first 2 shown]
	v_lshrrev_b32_e32 v17, 16, v3
	v_lshrrev_b32_e32 v23, 16, v0
	v_fmamk_f16 v27, v25, 0xbaee, v2
	v_fmac_f16_e32 v2, 0x3aee, v25
	v_fmamk_f16 v25, v24, 0x3aee, v14
	v_fmac_f16_e32 v14, 0xbaee, v24
	v_add_f16_e32 v24, v6, v4
	v_fmac_f16_e32 v3, -0.5, v15
	v_sub_f16_e32 v15, v6, v4
	v_add_f16_e32 v28, v28, v16
	v_sub_f16_e32 v16, v26, v16
	v_add_f16_e32 v26, v18, v19
	v_add_f16_e32 v31, v7, v5
	;; [unrolled: 1-line block ×3, first 2 shown]
	v_fmac_f16_e32 v17, -0.5, v24
	v_fmamk_f16 v24, v15, 0xbaee, v3
	v_fmac_f16_e32 v3, 0x3aee, v15
	v_add_f16_e32 v15, v0, v18
	v_fmac_f16_e32 v0, -0.5, v26
	v_sub_f16_e32 v26, v7, v5
	v_add_f16_e32 v7, v23, v7
	v_fmac_f16_e32 v23, -0.5, v31
	v_sub_f16_e32 v18, v18, v19
	v_add_f16_e32 v4, v6, v4
	v_fmamk_f16 v6, v16, 0x3aee, v17
	v_add_f16_e32 v5, v7, v5
	v_pack_b32_f16 v7, v27, v25
	v_fmac_f16_e32 v17, 0xbaee, v16
	v_pack_b32_f16 v2, v2, v14
	v_add_f16_e32 v15, v15, v19
	v_fmamk_f16 v16, v26, 0xbaee, v0
	v_fmamk_f16 v14, v18, 0x3aee, v23
	v_fmac_f16_e32 v0, 0x3aee, v26
	v_fmac_f16_e32 v23, 0xbaee, v18
	v_pack_b32_f16 v1, v13, v1
	ds_write_b32 v51, v7 offset:1560
	ds_write_b32 v51, v2 offset:3120
	v_pack_b32_f16 v2, v28, v4
	v_pack_b32_f16 v3, v3, v17
	;; [unrolled: 1-line block ×6, first 2 shown]
	ds_write2_b32 v51, v1, v2 offset1:117
	ds_write_b32 v51, v3 offset:3588
	ds_write_b32 v51, v5 offset:936
	ds_write2_b32 v8, v4, v6 offset0:123 offset1:240
	ds_write_b32 v51, v0 offset:4056
	s_and_saveexec_b32 s0, vcc_lo
	s_cbranch_execz .LBB0_25
; %bb.24:
	v_mul_f16_sdwa v0, v30, v10 dst_sel:DWORD dst_unused:UNUSED_PAD src0_sel:WORD_1 src1_sel:DWORD
	v_mul_f16_sdwa v1, v29, v11 dst_sel:DWORD dst_unused:UNUSED_PAD src0_sel:WORD_1 src1_sel:DWORD
	;; [unrolled: 1-line block ×4, first 2 shown]
	v_fma_f16 v0, v30, v21, -v0
	v_fma_f16 v1, v29, v22, -v1
	v_fmac_f16_e32 v2, v29, v11
	v_fmac_f16_e32 v3, v30, v10
	v_add_f16_e32 v4, v1, v0
	v_add_f16_e32 v5, v1, v12
	;; [unrolled: 1-line block ×4, first 2 shown]
	v_sub_f16_e32 v2, v2, v3
	v_fmac_f16_e32 v12, -0.5, v4
	v_sub_f16_e32 v1, v1, v0
	v_fmac_f16_e32 v9, -0.5, v6
	v_add_f16_e32 v0, v0, v5
	v_add_f16_e32 v3, v7, v3
	v_fmamk_f16 v4, v2, 0xbaee, v12
	v_fmac_f16_e32 v12, 0x3aee, v2
	v_fmamk_f16 v2, v1, 0x3aee, v9
	v_fmac_f16_e32 v9, 0xbaee, v1
	v_pack_b32_f16 v0, v3, v0
	v_pack_b32_f16 v2, v2, v4
	;; [unrolled: 1-line block ×3, first 2 shown]
	ds_write_b32 v51, v0 offset:1404
	ds_write_b32 v51, v1 offset:2964
	;; [unrolled: 1-line block ×3, first 2 shown]
.LBB0_25:
	s_or_b32 exec_lo, exec_lo, s0
	s_waitcnt lgkmcnt(0)
	s_barrier
	buffer_gl0_inv
	ds_read2_b32 v[2:3], v51 offset1:117
	v_add_nc_u32_e32 v0, 0x600, v51
	v_mad_u64_u32 v[8:9], null, s4, v58, 0
	s_mul_i32 s3, s4, 0x924
	ds_read2_b32 v[0:1], v0 offset0:84 offset1:201
	s_waitcnt lgkmcnt(1)
	v_lshrrev_b32_e32 v4, 16, v2
	v_mul_f16_sdwa v5, v59, v2 dst_sel:DWORD dst_unused:UNUSED_PAD src0_sel:WORD_1 src1_sel:DWORD
	v_lshrrev_b32_e32 v17, 16, v3
	v_mul_f16_sdwa v18, v57, v3 dst_sel:DWORD dst_unused:UNUSED_PAD src0_sel:WORD_1 src1_sel:DWORD
	v_mul_f16_sdwa v6, v59, v4 dst_sel:DWORD dst_unused:UNUSED_PAD src0_sel:WORD_1 src1_sel:DWORD
	v_fma_f16 v4, v59, v4, -v5
	s_waitcnt lgkmcnt(0)
	v_lshrrev_b32_e32 v12, 16, v1
	v_mul_f16_sdwa v7, v60, v1 dst_sel:DWORD dst_unused:UNUSED_PAD src0_sel:WORD_1 src1_sel:DWORD
	v_fmac_f16_e32 v6, v59, v2
	v_cvt_f32_f16_e32 v2, v4
	v_mad_u64_u32 v[4:5], null, s6, v20, 0
	v_fma_f16 v13, v60, v12, -v7
	v_cvt_f32_f16_e32 v10, v6
	v_cvt_f64_f32_e32 v[6:7], v2
	v_mul_f16_sdwa v16, v60, v12 dst_sel:DWORD dst_unused:UNUSED_PAD src0_sel:WORD_1 src1_sel:DWORD
	v_cvt_f32_f16_e32 v13, v13
	v_cvt_f64_f32_e32 v[10:11], v10
	v_mov_b32_e32 v2, v5
	v_fmac_f16_e32 v16, v60, v1
	v_mov_b32_e32 v5, v9
	v_cvt_f64_f32_e32 v[12:13], v13
	v_mad_u64_u32 v[1:2], null, s7, v20, v[2:3]
	s_mov_b32 s6, 0x1c01c01c
	v_cvt_f32_f16_e32 v2, v16
	s_mov_b32 s7, 0x3f4c01c0
	v_mad_u64_u32 v[14:15], null, s5, v58, v[5:6]
	v_mul_f64 v[6:7], v[6:7], s[6:7]
	v_cvt_f64_f32_e32 v[15:16], v2
	v_mov_b32_e32 v5, v1
	v_mul_f64 v[1:2], v[10:11], s[6:7]
	v_mov_b32_e32 v9, v14
	v_mul_f16_sdwa v14, v57, v17 dst_sel:DWORD dst_unused:UNUSED_PAD src0_sel:WORD_1 src1_sel:DWORD
	v_lshlrev_b64 v[4:5], 2, v[4:5]
	v_mul_f64 v[10:11], v[12:13], s[6:7]
	v_lshlrev_b64 v[8:9], 2, v[8:9]
	v_fmac_f16_e32 v14, v57, v3
	v_add_co_u32 v3, vcc_lo, s12, v4
	v_add_co_ci_u32_e32 v4, vcc_lo, s13, v5, vcc_lo
	v_cvt_f32_f16_e32 v5, v14
	v_add_co_u32 v3, vcc_lo, v3, v8
	v_add_co_ci_u32_e32 v4, vcc_lo, v4, v9, vcc_lo
	v_cvt_f64_f32_e32 v[8:9], v5
	v_and_or_b32 v5, 0x1ff, v7, v6
	v_mul_f64 v[12:13], v[15:16], s[6:7]
	v_and_or_b32 v1, 0x1ff, v2, v1
	v_lshrrev_b32_e32 v6, 8, v7
	v_lshrrev_b32_e32 v15, 8, v2
	v_cmp_ne_u32_e32 vcc_lo, 0, v5
	v_bfe_u32 v16, v2, 20, 11
	v_and_or_b32 v10, 0x1ff, v11, v10
	v_bfe_u32 v14, v7, 20, 11
	v_bfe_u32 v21, v11, 20, 11
	v_cndmask_b32_e64 v5, 0, 1, vcc_lo
	v_cmp_ne_u32_e32 vcc_lo, 0, v1
	v_sub_nc_u32_e32 v22, 0x3f1, v16
	v_sub_nc_u32_e32 v19, 0x3f1, v14
	v_add_nc_u32_e32 v14, 0xfffffc10, v14
	v_and_or_b32 v5, 0xffe, v6, v5
	v_cndmask_b32_e64 v1, 0, 1, vcc_lo
	v_cmp_ne_u32_e32 vcc_lo, 0, v10
	v_lshrrev_b32_e32 v20, 8, v11
	v_med3_i32 v6, v19, 0, 13
	v_sub_nc_u32_e32 v24, 0x3f1, v21
	v_and_or_b32 v1, 0xffe, v15, v1
	v_cndmask_b32_e64 v10, 0, 1, vcc_lo
	v_and_or_b32 v12, 0x1ff, v13, v12
	v_med3_i32 v15, v22, 0, 13
	v_cmp_ne_u32_e32 vcc_lo, 0, v5
	v_or_b32_e32 v26, 0x1000, v1
	v_or_b32_e32 v22, 0x1000, v5
	v_lshl_or_b32 v25, v14, 12, v5
	v_add_nc_u32_e32 v16, 0xfffffc10, v16
	v_cndmask_b32_e64 v5, 0, 1, vcc_lo
	v_cmp_ne_u32_e32 vcc_lo, 0, v12
	v_lshrrev_b32_e32 v28, v15, v26
	v_and_or_b32 v10, 0xffe, v20, v10
	v_med3_i32 v20, v24, 0, 13
	v_lshrrev_b32_e32 v24, v6, v22
	v_cndmask_b32_e64 v12, 0, 1, vcc_lo
	v_lshlrev_b32_e32 v15, v15, v28
	v_cmp_ne_u32_e32 vcc_lo, 0, v1
	v_lshrrev_b32_e32 v19, 8, v13
	v_bfe_u32 v23, v13, 20, 11
	v_lshl_or_b32 v29, v16, 12, v1
	v_lshlrev_b32_e32 v6, v6, v24
	v_cndmask_b32_e64 v1, 0, 1, vcc_lo
	v_cmp_ne_u32_e32 vcc_lo, v15, v26
	v_sub_nc_u32_e32 v27, 0x3f1, v23
	v_and_or_b32 v12, 0xffe, v19, v12
	v_add_nc_u32_e32 v23, 0xfffffc10, v23
	v_lshl_or_b32 v1, v1, 9, 0x7c00
	v_cndmask_b32_e64 v15, 0, 1, vcc_lo
	v_cmp_ne_u32_e32 vcc_lo, v6, v22
	v_med3_i32 v19, v27, 0, 13
	v_or_b32_e32 v22, 0x1000, v12
	v_lshl_or_b32 v27, v23, 12, v12
	v_or_b32_e32 v15, v28, v15
	v_cndmask_b32_e64 v6, 0, 1, vcc_lo
	v_cmp_gt_i32_e32 vcc_lo, 1, v16
	v_lshl_or_b32 v5, v5, 9, 0x7c00
	v_or_b32_e32 v26, 0x1000, v10
	v_lshrrev_b32_e32 v2, 16, v2
	v_or_b32_e32 v6, v24, v6
	v_lshrrev_b32_e32 v24, v19, v22
	v_cndmask_b32_e32 v15, v29, v15, vcc_lo
	v_cmp_gt_i32_e32 vcc_lo, 1, v14
	v_lshrrev_b32_e32 v7, 16, v7
	v_lshrrev_b32_e32 v13, 16, v13
	v_lshlrev_b32_e32 v19, v19, v24
	v_cndmask_b32_e32 v6, v25, v6, vcc_lo
	v_and_b32_e32 v25, 7, v15
	v_lshrrev_b32_e32 v15, 2, v15
	v_cmp_ne_u32_e32 vcc_lo, v19, v22
	v_and_b32_e32 v28, 7, v6
	v_cmp_eq_u32_e64 s0, 3, v25
	v_lshrrev_b32_e32 v6, 2, v6
	v_cndmask_b32_e64 v19, 0, 1, vcc_lo
	v_cmp_lt_i32_e32 vcc_lo, 5, v25
	v_cmp_lt_i32_e64 s1, 5, v28
	v_cmp_eq_u32_e64 s2, 3, v28
	v_or_b32_e32 v19, v24, v19
	s_or_b32 vcc_lo, s0, vcc_lo
	v_add_co_ci_u32_e32 v15, vcc_lo, 0, v15, vcc_lo
	s_or_b32 vcc_lo, s2, s1
	s_mul_hi_u32 s2, s4, 0x924
	v_add_co_ci_u32_e32 v6, vcc_lo, 0, v6, vcc_lo
	v_cmp_gt_i32_e32 vcc_lo, 31, v16
	v_cndmask_b32_e32 v15, 0x7c00, v15, vcc_lo
	v_cmp_gt_i32_e32 vcc_lo, 31, v14
	v_cndmask_b32_e32 v6, 0x7c00, v6, vcc_lo
	v_cmp_eq_u32_e32 vcc_lo, 0x40f, v16
	v_add_nc_u32_e32 v16, 0xfffffc10, v21
	v_cndmask_b32_e32 v1, v15, v1, vcc_lo
	v_cmp_gt_i32_e32 vcc_lo, 1, v23
	v_cndmask_b32_e32 v15, v27, v19, vcc_lo
	v_cmp_eq_u32_e32 vcc_lo, 0x40f, v14
	v_lshrrev_b32_e32 v14, v20, v26
	v_cndmask_b32_e32 v5, v6, v5, vcc_lo
	v_and_or_b32 v6, 0x8000, v2, v1
	v_mul_f64 v[1:2], v[8:9], s[6:7]
	v_and_b32_e32 v8, 7, v15
	v_lshrrev_b32_e32 v9, 2, v15
	v_and_or_b32 v5, 0x8000, v7, v5
	v_lshlrev_b32_e32 v7, v20, v14
	v_and_b32_e32 v6, 0xffff, v6
	v_cmp_lt_i32_e32 vcc_lo, 5, v8
	v_cmp_eq_u32_e64 s0, 3, v8
	v_cmp_ne_u32_e64 s1, v7, v26
	v_lshl_or_b32 v15, v5, 16, v6
	v_fma_f16 v6, v57, v17, -v18
	s_or_b32 vcc_lo, s0, vcc_lo
	v_add_co_ci_u32_e32 v7, vcc_lo, 0, v9, vcc_lo
	v_cndmask_b32_e64 v5, 0, 1, s1
	v_cmp_ne_u32_e32 vcc_lo, 0, v12
	v_cvt_f32_f16_e32 v6, v6
	v_lshl_or_b32 v9, v16, 12, v10
	global_store_dword v[3:4], v15, off
	v_or_b32_e32 v8, v14, v5
	v_cndmask_b32_e64 v12, 0, 1, vcc_lo
	v_cmp_gt_i32_e32 vcc_lo, 1, v16
	v_cvt_f64_f32_e32 v[5:6], v6
	v_and_or_b32 v1, 0x1ff, v2, v1
	v_lshrrev_b32_e32 v14, 8, v2
	v_bfe_u32 v17, v2, 20, 11
	v_cndmask_b32_e32 v9, v9, v8, vcc_lo
	v_cmp_gt_i32_e32 vcc_lo, 31, v23
	v_lshl_or_b32 v8, v12, 9, 0x7c00
	v_and_b32_e32 v12, 7, v9
	v_cndmask_b32_e32 v7, 0x7c00, v7, vcc_lo
	v_cmp_ne_u32_e32 vcc_lo, 0, v1
	v_lshrrev_b32_e32 v9, 2, v9
	v_cmp_eq_u32_e64 s0, 3, v12
	v_cndmask_b32_e64 v1, 0, 1, vcc_lo
	v_cmp_eq_u32_e32 vcc_lo, 0x40f, v23
	v_and_or_b32 v1, 0xffe, v14, v1
	v_cndmask_b32_e32 v18, v7, v8, vcc_lo
	v_add_nc_u32_e32 v7, 0xa00, v51
	v_cmp_lt_i32_e32 vcc_lo, 5, v12
	v_mul_f64 v[5:6], v[5:6], s[6:7]
	v_sub_nc_u32_e32 v14, 0x3f1, v17
	v_or_b32_e32 v12, 0x1000, v1
	ds_read2_b32 v[7:8], v7 offset0:62 offset1:179
	s_or_b32 vcc_lo, s0, vcc_lo
	v_and_or_b32 v13, 0x8000, v13, v18
	v_add_co_ci_u32_e32 v9, vcc_lo, 0, v9, vcc_lo
	v_med3_i32 v14, v14, 0, 13
	v_cmp_ne_u32_e32 vcc_lo, 0, v10
	s_mul_i32 s0, s5, 0x924
	s_add_i32 s2, s2, s0
	v_lshrrev_b32_e32 v19, v14, v12
	v_cndmask_b32_e64 v10, 0, 1, vcc_lo
	v_cmp_gt_i32_e32 vcc_lo, 31, v16
	v_lshlrev_b32_e32 v14, v14, v19
	v_lshl_or_b32 v10, v10, 9, 0x7c00
	v_cndmask_b32_e32 v9, 0x7c00, v9, vcc_lo
	v_cmp_eq_u32_e32 vcc_lo, 0x40f, v16
	v_and_or_b32 v5, 0x1ff, v6, v5
	s_waitcnt lgkmcnt(0)
	v_lshrrev_b32_e32 v15, 16, v7
	v_add_nc_u32_e32 v16, 0xfffffc10, v17
	v_bfe_u32 v17, v6, 20, 11
	v_cndmask_b32_e32 v9, v9, v10, vcc_lo
	v_cmp_ne_u32_e32 vcc_lo, v14, v12
	v_mul_f16_sdwa v12, v56, v15 dst_sel:DWORD dst_unused:UNUSED_PAD src0_sel:WORD_1 src1_sel:DWORD
	v_lshrrev_b32_e32 v10, 16, v11
	v_cndmask_b32_e64 v11, 0, 1, vcc_lo
	v_cmp_ne_u32_e32 vcc_lo, 0, v5
	v_fmac_f16_e32 v12, v56, v7
	v_and_or_b32 v14, 0x8000, v10, v9
	v_lshl_or_b32 v10, v16, 12, v1
	v_or_b32_e32 v9, v19, v11
	v_cndmask_b32_e64 v5, 0, 1, vcc_lo
	v_lshrrev_b32_e32 v11, 8, v6
	v_cmp_gt_i32_e32 vcc_lo, 1, v16
	v_cvt_f32_f16_e32 v12, v12
	v_mul_f16_sdwa v7, v56, v7 dst_sel:DWORD dst_unused:UNUSED_PAD src0_sel:WORD_1 src1_sel:DWORD
	v_lshrrev_b32_e32 v6, 16, v6
	v_and_or_b32 v5, 0xffe, v11, v5
	v_sub_nc_u32_e32 v11, 0x3f1, v17
	v_cndmask_b32_e32 v18, v10, v9, vcc_lo
	v_cvt_f64_f32_e32 v[9:10], v12
	v_and_b32_e32 v12, 0xffff, v13
	v_or_b32_e32 v19, 0x1000, v5
	v_med3_i32 v11, v11, 0, 13
	v_and_b32_e32 v13, 7, v18
	v_fma_f16 v7, v56, v15, -v7
	v_lshl_or_b32 v20, v14, 16, v12
	v_add_nc_u32_e32 v15, 0xfffffc10, v17
	v_lshrrev_b32_e32 v12, v11, v19
	v_cmp_lt_i32_e32 vcc_lo, 5, v13
	v_cmp_eq_u32_e64 s0, 3, v13
	v_lshrrev_b32_e32 v13, 2, v18
	v_cvt_f32_f16_e32 v7, v7
	v_lshlrev_b32_e32 v11, v11, v12
	v_lshl_or_b32 v17, v15, 12, v5
	s_or_b32 vcc_lo, s0, vcc_lo
	v_add_co_ci_u32_e32 v13, vcc_lo, 0, v13, vcc_lo
	v_cmp_ne_u32_e32 vcc_lo, v11, v19
	v_mul_f64 v[9:10], v[9:10], s[6:7]
	v_cndmask_b32_e64 v11, 0, 1, vcc_lo
	v_cmp_ne_u32_e32 vcc_lo, 0, v1
	v_or_b32_e32 v14, v12, v11
	v_cndmask_b32_e64 v1, 0, 1, vcc_lo
	v_cmp_gt_i32_e32 vcc_lo, 31, v16
	v_cvt_f64_f32_e32 v[11:12], v7
	v_lshl_or_b32 v1, v1, 9, 0x7c00
	v_cndmask_b32_e32 v7, 0x7c00, v13, vcc_lo
	v_cmp_gt_i32_e32 vcc_lo, 1, v15
	v_add_nc_u32_e32 v13, 0x200, v51
	v_cndmask_b32_e32 v17, v17, v14, vcc_lo
	v_add_co_u32 v3, vcc_lo, v3, s3
	v_add_co_ci_u32_e32 v4, vcc_lo, s2, v4, vcc_lo
	v_cmp_eq_u32_e32 vcc_lo, 0x40f, v16
	ds_read2_b32 v[13:14], v13 offset0:106 offset1:223
	v_and_b32_e32 v18, 7, v17
	v_lshrrev_b32_e32 v16, 2, v17
	v_cndmask_b32_e32 v7, v7, v1, vcc_lo
	v_and_or_b32 v1, 0x1ff, v10, v9
	v_lshrrev_b32_e32 v9, 16, v2
	v_cmp_lt_i32_e32 vcc_lo, 5, v18
	v_cmp_eq_u32_e64 s0, 3, v18
	v_lshrrev_b32_e32 v18, 8, v10
	v_cmp_ne_u32_e64 s1, 0, v1
	v_mul_f64 v[1:2], v[11:12], s[6:7]
	v_bfe_u32 v11, v10, 20, 11
	s_or_b32 vcc_lo, s0, vcc_lo
	v_and_or_b32 v7, 0x8000, v9, v7
	v_cndmask_b32_e64 v17, 0, 1, s1
	v_add_co_ci_u32_e32 v12, vcc_lo, 0, v16, vcc_lo
	v_cmp_ne_u32_e32 vcc_lo, 0, v5
	v_sub_nc_u32_e32 v16, 0x3f1, v11
	v_and_or_b32 v17, 0xffe, v18, v17
	s_waitcnt lgkmcnt(0)
	v_lshrrev_b32_e32 v18, 16, v13
	s_mul_hi_u32 s0, s4, 0xfffff8b0
	v_cndmask_b32_e64 v5, 0, 1, vcc_lo
	v_cmp_gt_i32_e32 vcc_lo, 31, v15
	v_or_b32_e32 v19, 0x1000, v17
	v_med3_i32 v16, v16, 0, 13
	v_mul_f16_sdwa v21, v55, v18 dst_sel:DWORD dst_unused:UNUSED_PAD src0_sel:WORD_1 src1_sel:DWORD
	v_lshl_or_b32 v5, v5, 9, 0x7c00
	v_cndmask_b32_e32 v12, 0x7c00, v12, vcc_lo
	v_cmp_eq_u32_e32 vcc_lo, 0x40f, v15
	v_lshrrev_b32_e32 v9, v16, v19
	v_fmac_f16_e32 v21, v55, v13
	v_and_or_b32 v1, 0x1ff, v2, v1
	v_and_b32_e32 v7, 0xffff, v7
	v_cndmask_b32_e32 v5, v12, v5, vcc_lo
	v_lshlrev_b32_e32 v15, v16, v9
	v_lshrrev_b32_e32 v16, 8, v2
	v_cmp_ne_u32_e32 vcc_lo, 0, v1
	s_mul_i32 s1, s5, 0xfffff8b0
	v_and_or_b32 v12, 0x8000, v6, v5
	v_cvt_f32_f16_e32 v5, v21
	v_bfe_u32 v21, v2, 20, 11
	v_cndmask_b32_e64 v1, 0, 1, vcc_lo
	v_cmp_ne_u32_e32 vcc_lo, v15, v19
	v_add_nc_u32_e32 v19, 0xfffffc10, v11
	v_cvt_f64_f32_e32 v[5:6], v5
	v_sub_nc_u32_e32 v11, 0x3f1, v21
	v_and_or_b32 v1, 0xffe, v16, v1
	v_cndmask_b32_e64 v15, 0, 1, vcc_lo
	v_cmp_gt_i32_e32 vcc_lo, 1, v19
	s_sub_i32 s5, s0, s4
	v_med3_i32 v11, v11, 0, 13
	v_or_b32_e32 v16, 0x1000, v1
	v_or_b32_e32 v9, v9, v15
	v_lshl_or_b32 v15, v19, 12, v17
	s_mulk_i32 s4, 0xf8b0
	s_add_i32 s5, s5, s1
	v_mul_f16_sdwa v13, v55, v13 dst_sel:DWORD dst_unused:UNUSED_PAD src0_sel:WORD_1 src1_sel:DWORD
	v_lshl_or_b32 v7, v12, 16, v7
	v_cndmask_b32_e32 v9, v15, v9, vcc_lo
	v_lshrrev_b32_e32 v15, v11, v16
	v_fma_f16 v13, v55, v18, -v13
	v_add_nc_u32_e32 v18, 0xfffffc10, v21
	v_and_b32_e32 v22, 7, v9
	v_lshlrev_b32_e32 v23, v11, v15
	v_add_co_u32 v11, vcc_lo, v3, s4
	v_mul_f64 v[5:6], v[5:6], s[6:7]
	v_add_co_ci_u32_e32 v12, vcc_lo, s5, v4, vcc_lo
	v_cmp_ne_u32_e64 s0, v23, v16
	v_cmp_lt_i32_e32 vcc_lo, 5, v22
	v_lshrrev_b32_e32 v9, 2, v9
	v_cvt_f32_f16_e32 v13, v13
	global_store_dword v[3:4], v20, off
	global_store_dword v[11:12], v7, off
	v_cndmask_b32_e64 v16, 0, 1, s0
	v_cmp_eq_u32_e64 s0, 3, v22
	v_lshl_or_b32 v22, v18, 12, v1
	v_lshrrev_b32_e32 v20, 16, v14
	v_or_b32_e32 v21, v15, v16
	s_or_b32 vcc_lo, s0, vcc_lo
	v_cvt_f64_f32_e32 v[15:16], v13
	v_add_co_ci_u32_e32 v9, vcc_lo, 0, v9, vcc_lo
	v_cmp_ne_u32_e32 vcc_lo, 0, v17
	v_and_or_b32 v5, 0x1ff, v6, v5
	v_cndmask_b32_e64 v13, 0, 1, vcc_lo
	v_cmp_gt_i32_e32 vcc_lo, 1, v18
	v_bfe_u32 v23, v6, 20, 11
	v_lshl_or_b32 v13, v13, 9, 0x7c00
	v_cndmask_b32_e32 v17, v22, v21, vcc_lo
	v_cmp_gt_i32_e32 vcc_lo, 31, v19
	v_lshrrev_b32_e32 v22, 8, v6
	v_and_b32_e32 v21, 7, v17
	v_cndmask_b32_e32 v9, 0x7c00, v9, vcc_lo
	v_cmp_ne_u32_e32 vcc_lo, 0, v5
	v_cmp_eq_u32_e64 s0, 3, v21
	v_cndmask_b32_e64 v5, 0, 1, vcc_lo
	v_cmp_eq_u32_e32 vcc_lo, 0x40f, v19
	v_lshrrev_b32_e32 v19, 16, v10
	v_and_or_b32 v5, 0xffe, v22, v5
	v_cndmask_b32_e32 v13, v9, v13, vcc_lo
	v_cmp_lt_i32_e32 vcc_lo, 5, v21
	v_mul_f64 v[9:10], v[15:16], s[6:7]
	v_lshrrev_b32_e32 v16, 2, v17
	v_sub_nc_u32_e32 v22, 0x3f1, v23
	v_or_b32_e32 v17, 0x1000, v5
	s_or_b32 vcc_lo, s0, vcc_lo
	v_lshrrev_b32_e32 v15, 16, v8
	v_add_co_ci_u32_e32 v16, vcc_lo, 0, v16, vcc_lo
	v_med3_i32 v21, v22, 0, 13
	v_cmp_ne_u32_e32 vcc_lo, 0, v1
	v_mul_f16_sdwa v22, v54, v15 dst_sel:DWORD dst_unused:UNUSED_PAD src0_sel:WORD_1 src1_sel:DWORD
	v_and_or_b32 v13, 0x8000, v19, v13
	v_lshrrev_b32_e32 v24, v21, v17
	v_cndmask_b32_e64 v1, 0, 1, vcc_lo
	v_cmp_gt_i32_e32 vcc_lo, 31, v18
	v_fmac_f16_e32 v22, v54, v8
	v_and_b32_e32 v13, 0xffff, v13
	v_lshlrev_b32_e32 v19, v21, v24
	v_lshl_or_b32 v1, v1, 9, 0x7c00
	v_cndmask_b32_e32 v16, 0x7c00, v16, vcc_lo
	v_cmp_eq_u32_e32 vcc_lo, 0x40f, v18
	v_and_or_b32 v9, 0x1ff, v10, v9
	v_cvt_f32_f16_e32 v21, v22
	v_lshrrev_b32_e32 v18, 16, v2
	v_bfe_u32 v22, v10, 20, 11
	v_cndmask_b32_e32 v16, v16, v1, vcc_lo
	v_cmp_ne_u32_e32 vcc_lo, v19, v17
	v_cvt_f64_f32_e32 v[1:2], v21
	v_add_nc_u32_e32 v19, 0xfffffc10, v23
	v_lshrrev_b32_e32 v21, 8, v10
	v_and_or_b32 v16, 0x8000, v18, v16
	v_cndmask_b32_e64 v17, 0, 1, vcc_lo
	v_cmp_ne_u32_e32 vcc_lo, 0, v9
	v_lshl_or_b32 v18, v19, 12, v5
	v_mul_f16_sdwa v8, v54, v8 dst_sel:DWORD dst_unused:UNUSED_PAD src0_sel:WORD_1 src1_sel:DWORD
	v_lshl_or_b32 v13, v16, 16, v13
	v_or_b32_e32 v17, v24, v17
	v_cndmask_b32_e64 v9, 0, 1, vcc_lo
	v_cmp_gt_i32_e32 vcc_lo, 1, v19
	v_fma_f16 v8, v54, v15, -v8
	v_and_or_b32 v9, 0xffe, v21, v9
	v_sub_nc_u32_e32 v21, 0x3f1, v22
	v_cndmask_b32_e32 v17, v18, v17, vcc_lo
	v_add_co_u32 v3, vcc_lo, v11, s3
	v_or_b32_e32 v18, 0x1000, v9
	v_med3_i32 v21, v21, 0, 13
	v_and_b32_e32 v7, 7, v17
	v_mul_f64 v[1:2], v[1:2], s[6:7]
	v_add_co_ci_u32_e32 v4, vcc_lo, s2, v12, vcc_lo
	v_lshrrev_b32_e32 v16, v21, v18
	v_cmp_lt_i32_e32 vcc_lo, 5, v7
	v_cmp_eq_u32_e64 s0, 3, v7
	v_lshrrev_b32_e32 v7, 2, v17
	v_add_nc_u32_e32 v12, 0xfffffc10, v22
	v_lshlrev_b32_e32 v11, v21, v16
	global_store_dword v[3:4], v13, off
	s_or_b32 vcc_lo, s0, vcc_lo
	v_add_co_ci_u32_e32 v15, vcc_lo, 0, v7, vcc_lo
	v_cmp_ne_u32_e64 s1, v11, v18
	v_cmp_ne_u32_e32 vcc_lo, 0, v5
	v_cvt_f32_f16_e32 v7, v8
	v_cndmask_b32_e64 v11, 0, 1, s1
	v_cndmask_b32_e64 v5, 0, 1, vcc_lo
	v_cmp_gt_i32_e32 vcc_lo, 1, v12
	v_cvt_f64_f32_e32 v[7:8], v7
	v_and_or_b32 v1, 0x1ff, v2, v1
	v_or_b32_e32 v11, v16, v11
	v_lshl_or_b32 v16, v12, 12, v9
	v_lshl_or_b32 v5, v5, 9, 0x7c00
	v_bfe_u32 v18, v2, 20, 11
	v_lshrrev_b32_e32 v17, 8, v2
	v_cndmask_b32_e32 v11, v16, v11, vcc_lo
	v_cmp_gt_i32_e32 vcc_lo, 31, v19
	v_and_b32_e32 v16, 7, v11
	v_cndmask_b32_e32 v15, 0x7c00, v15, vcc_lo
	v_cmp_ne_u32_e32 vcc_lo, 0, v1
	v_lshrrev_b32_e32 v11, 2, v11
	v_cmp_eq_u32_e64 s0, 3, v16
	v_cndmask_b32_e64 v1, 0, 1, vcc_lo
	v_cmp_eq_u32_e32 vcc_lo, 0x40f, v19
	v_lshrrev_b32_e32 v19, 16, v6
	v_and_or_b32 v1, 0xffe, v17, v1
	v_cndmask_b32_e32 v15, v15, v5, vcc_lo
	v_sub_nc_u32_e32 v5, 0x3f1, v18
	v_cmp_lt_i32_e32 vcc_lo, 5, v16
	v_or_b32_e32 v16, 0x1000, v1
	v_and_or_b32 v15, 0x8000, v19, v15
	v_med3_i32 v17, v5, 0, 13
	v_mul_f64 v[5:6], v[7:8], s[6:7]
	s_or_b32 vcc_lo, s0, vcc_lo
	v_add_co_ci_u32_e32 v7, vcc_lo, 0, v11, vcc_lo
	v_cmp_ne_u32_e32 vcc_lo, 0, v9
	v_lshrrev_b32_e32 v9, v17, v16
	v_mul_f16_sdwa v11, v53, v20 dst_sel:DWORD dst_unused:UNUSED_PAD src0_sel:WORD_1 src1_sel:DWORD
	v_and_b32_e32 v15, 0xffff, v15
	v_cndmask_b32_e64 v8, 0, 1, vcc_lo
	v_cmp_gt_i32_e32 vcc_lo, 31, v12
	v_lshlrev_b32_e32 v17, v17, v9
	v_fmac_f16_e32 v11, v53, v14
	v_mul_f16_sdwa v14, v53, v14 dst_sel:DWORD dst_unused:UNUSED_PAD src0_sel:WORD_1 src1_sel:DWORD
	v_lshl_or_b32 v8, v8, 9, 0x7c00
	v_cndmask_b32_e32 v7, 0x7c00, v7, vcc_lo
	v_cmp_eq_u32_e32 vcc_lo, 0x40f, v12
	v_cndmask_b32_e32 v7, v7, v8, vcc_lo
	v_cmp_ne_u32_e32 vcc_lo, v17, v16
	v_and_or_b32 v5, 0x1ff, v6, v5
	v_lshrrev_b32_e32 v8, 16, v10
	v_cvt_f32_f16_e32 v10, v11
	v_add_nc_u32_e32 v16, 0xfffffc10, v18
	v_cndmask_b32_e64 v11, 0, 1, vcc_lo
	v_cmp_ne_u32_e32 vcc_lo, 0, v5
	v_and_or_b32 v12, 0x8000, v8, v7
	v_cvt_f64_f32_e32 v[7:8], v10
	v_lshl_or_b32 v10, v16, 12, v1
	v_or_b32_e32 v9, v9, v11
	v_cndmask_b32_e64 v5, 0, 1, vcc_lo
	v_lshrrev_b32_e32 v11, 8, v6
	v_bfe_u32 v17, v6, 20, 11
	v_cmp_gt_i32_e32 vcc_lo, 1, v16
	v_lshrrev_b32_e32 v6, 16, v6
	v_and_or_b32 v5, 0xffe, v11, v5
	v_lshl_or_b32 v11, v12, 16, v15
	v_cndmask_b32_e32 v9, v10, v9, vcc_lo
	v_sub_nc_u32_e32 v10, 0x3f1, v17
	v_add_co_u32 v3, vcc_lo, v3, s4
	v_or_b32_e32 v13, 0x1000, v5
	v_and_b32_e32 v12, 7, v9
	v_med3_i32 v10, v10, 0, 13
	v_add_co_ci_u32_e32 v4, vcc_lo, s5, v4, vcc_lo
	v_lshrrev_b32_e32 v9, 2, v9
	v_cmp_lt_i32_e32 vcc_lo, 5, v12
	v_lshrrev_b32_e32 v15, v10, v13
	v_cmp_eq_u32_e64 s0, 3, v12
	v_mul_f64 v[7:8], v[7:8], s[6:7]
	global_store_dword v[3:4], v11, off
	v_fma_f16 v11, v53, v20, -v14
	v_lshlrev_b32_e32 v10, v10, v15
	s_or_b32 vcc_lo, s0, vcc_lo
	v_add_nc_u32_e32 v17, 0xfffffc10, v17
	v_add_co_ci_u32_e32 v14, vcc_lo, 0, v9, vcc_lo
	v_cmp_ne_u32_e32 vcc_lo, v10, v13
	v_add_nc_u32_e32 v9, 0xe00, v51
	v_cvt_f32_f16_e32 v11, v11
	v_add_co_u32 v3, s1, v3, s3
	v_cndmask_b32_e64 v13, 0, 1, vcc_lo
	v_cmp_ne_u32_e32 vcc_lo, 0, v1
	ds_read2_b32 v[9:10], v9 offset0:40 offset1:157
	v_cvt_f64_f32_e32 v[11:12], v11
	v_add_co_ci_u32_e64 v4, s1, s2, v4, s1
	v_cndmask_b32_e64 v1, 0, 1, vcc_lo
	v_cmp_gt_i32_e32 vcc_lo, 31, v16
	v_or_b32_e32 v13, v15, v13
	v_lshl_or_b32 v15, v17, 12, v5
	v_and_or_b32 v7, 0x1ff, v8, v7
	v_bfe_u32 v18, v8, 20, 11
	v_cndmask_b32_e32 v14, 0x7c00, v14, vcc_lo
	v_cmp_gt_i32_e32 vcc_lo, 1, v17
	v_lshl_or_b32 v1, v1, 9, 0x7c00
	v_sub_nc_u32_e32 v19, 0x3f1, v18
	v_add_nc_u32_e32 v18, 0xfffffc10, v18
	v_cndmask_b32_e32 v13, v15, v13, vcc_lo
	v_cmp_ne_u32_e32 vcc_lo, 0, v7
	v_lshrrev_b32_e32 v15, 8, v8
	v_lshrrev_b32_e32 v8, 16, v8
	s_waitcnt lgkmcnt(0)
	v_lshrrev_b32_e32 v20, 16, v9
	v_cndmask_b32_e64 v7, 0, 1, vcc_lo
	v_cmp_eq_u32_e32 vcc_lo, 0x40f, v16
	v_and_b32_e32 v16, 7, v13
	v_lshrrev_b32_e32 v13, 2, v13
	v_and_or_b32 v7, 0xffe, v15, v7
	v_cndmask_b32_e32 v14, v14, v1, vcc_lo
	v_cmp_lt_i32_e32 vcc_lo, 5, v16
	v_cmp_eq_u32_e64 s0, 3, v16
	v_lshrrev_b32_e32 v15, 16, v2
	v_mul_f64 v[1:2], v[11:12], s[6:7]
	v_or_b32_e32 v21, 0x1000, v7
	v_med3_i32 v11, v19, 0, 13
	v_mul_f16_sdwa v12, v52, v20 dst_sel:DWORD dst_unused:UNUSED_PAD src0_sel:WORD_1 src1_sel:DWORD
	s_or_b32 vcc_lo, s0, vcc_lo
	v_and_or_b32 v14, 0x8000, v15, v14
	v_add_co_ci_u32_e32 v13, vcc_lo, 0, v13, vcc_lo
	v_lshrrev_b32_e32 v15, v11, v21
	v_cmp_ne_u32_e32 vcc_lo, 0, v5
	v_fmac_f16_e32 v12, v52, v9
	v_and_b32_e32 v14, 0xffff, v14
	v_mul_f16_sdwa v9, v52, v9 dst_sel:DWORD dst_unused:UNUSED_PAD src0_sel:WORD_1 src1_sel:DWORD
	v_lshlrev_b32_e32 v16, v11, v15
	v_cndmask_b32_e64 v5, 0, 1, vcc_lo
	v_cmp_gt_i32_e32 vcc_lo, 31, v17
	v_cvt_f32_f16_e32 v12, v12
	v_fma_f16 v9, v52, v20, -v9
	v_lshl_or_b32 v5, v5, 9, 0x7c00
	v_cndmask_b32_e32 v13, 0x7c00, v13, vcc_lo
	v_cmp_ne_u32_e32 vcc_lo, v16, v21
	v_cvt_f64_f32_e32 v[11:12], v12
	v_and_or_b32 v1, 0x1ff, v2, v1
	v_cvt_f32_f16_e32 v9, v9
	v_cndmask_b32_e64 v16, 0, 1, vcc_lo
	v_cmp_eq_u32_e32 vcc_lo, 0x40f, v17
	v_bfe_u32 v17, v2, 20, 11
	v_cndmask_b32_e32 v5, v13, v5, vcc_lo
	v_cmp_ne_u32_e32 vcc_lo, 0, v1
	v_or_b32_e32 v13, v15, v16
	v_lshrrev_b32_e32 v16, 8, v2
	v_lshl_or_b32 v15, v18, 12, v7
	v_cndmask_b32_e64 v1, 0, 1, vcc_lo
	v_cmp_gt_i32_e32 vcc_lo, 1, v18
	v_and_or_b32 v1, 0xffe, v16, v1
	v_sub_nc_u32_e32 v16, 0x3f1, v17
	v_cndmask_b32_e32 v13, v15, v13, vcc_lo
	v_and_or_b32 v15, 0x8000, v6, v5
	v_mul_f64 v[5:6], v[11:12], s[6:7]
	v_or_b32_e32 v21, 0x1000, v1
	v_med3_i32 v11, v16, 0, 13
	v_and_b32_e32 v19, 7, v13
	v_lshl_or_b32 v14, v15, 16, v14
	v_lshrrev_b32_e32 v12, 2, v13
	v_lshrrev_b32_e32 v15, v11, v21
	v_cmp_lt_i32_e32 vcc_lo, 5, v19
	v_cmp_eq_u32_e64 s0, 3, v19
	v_lshlrev_b32_e32 v11, v11, v15
	s_or_b32 vcc_lo, s0, vcc_lo
	v_add_co_ci_u32_e32 v13, vcc_lo, 0, v12, vcc_lo
	v_cmp_ne_u32_e32 vcc_lo, v11, v21
	v_cvt_f64_f32_e32 v[11:12], v9
	v_add_nc_u32_e32 v9, 0xfffffc10, v17
	v_and_or_b32 v5, 0x1ff, v6, v5
	v_cndmask_b32_e64 v16, 0, 1, vcc_lo
	v_cmp_gt_i32_e32 vcc_lo, 31, v18
	v_lshrrev_b32_e32 v17, 8, v6
	v_bfe_u32 v19, v6, 20, 11
	v_or_b32_e32 v15, v15, v16
	v_cndmask_b32_e32 v13, 0x7c00, v13, vcc_lo
	v_cmp_ne_u32_e32 vcc_lo, 0, v5
	v_lshl_or_b32 v16, v9, 12, v1
	v_cndmask_b32_e64 v5, 0, 1, vcc_lo
	v_cmp_ne_u32_e32 vcc_lo, 0, v7
	v_and_or_b32 v5, 0xffe, v17, v5
	v_cndmask_b32_e64 v7, 0, 1, vcc_lo
	v_cmp_gt_i32_e32 vcc_lo, 1, v9
	v_lshrrev_b32_e32 v17, 16, v0
	v_mul_f64 v[11:12], v[11:12], s[6:7]
	v_or_b32_e32 v21, 0x1000, v5
	v_lshl_or_b32 v7, v7, 9, 0x7c00
	v_cndmask_b32_e32 v15, v16, v15, vcc_lo
	v_sub_nc_u32_e32 v16, 0x3f1, v19
	v_cmp_eq_u32_e32 vcc_lo, 0x40f, v18
	v_mul_f16_sdwa v22, v50, v17 dst_sel:DWORD dst_unused:UNUSED_PAD src0_sel:WORD_1 src1_sel:DWORD
	v_add_nc_u32_e32 v19, 0xfffffc10, v19
	v_and_b32_e32 v20, 7, v15
	v_med3_i32 v16, v16, 0, 13
	v_cndmask_b32_e32 v7, v13, v7, vcc_lo
	v_fmac_f16_e32 v22, v50, v0
	v_mul_f16_sdwa v0, v50, v0 dst_sel:DWORD dst_unused:UNUSED_PAD src0_sel:WORD_1 src1_sel:DWORD
	v_cmp_lt_i32_e32 vcc_lo, 5, v20
	v_lshrrev_b32_e32 v13, v16, v21
	v_cmp_eq_u32_e64 s0, 3, v20
	v_and_or_b32 v18, 0x8000, v8, v7
	v_lshrrev_b32_e32 v7, 2, v15
	v_cvt_f32_f16_e32 v15, v22
	v_lshlrev_b32_e32 v8, v16, v13
	s_or_b32 vcc_lo, s0, vcc_lo
	v_fma_f16 v0, v50, v17, -v0
	v_add_co_ci_u32_e32 v16, vcc_lo, 0, v7, vcc_lo
	v_cmp_ne_u32_e32 vcc_lo, v8, v21
	v_cvt_f64_f32_e32 v[7:8], v15
	v_lshl_or_b32 v15, v19, 12, v5
	v_and_or_b32 v11, 0x1ff, v12, v11
	v_cvt_f32_f16_e32 v0, v0
	v_cndmask_b32_e64 v20, 0, 1, vcc_lo
	v_cmp_ne_u32_e32 vcc_lo, 0, v1
	v_or_b32_e32 v13, v13, v20
	v_cndmask_b32_e64 v1, 0, 1, vcc_lo
	v_cmp_gt_i32_e32 vcc_lo, 31, v9
	v_bfe_u32 v20, v12, 20, 11
	v_lshl_or_b32 v1, v1, 9, 0x7c00
	v_cndmask_b32_e32 v16, 0x7c00, v16, vcc_lo
	v_cmp_gt_i32_e32 vcc_lo, 1, v19
	v_cndmask_b32_e32 v13, v15, v13, vcc_lo
	v_cmp_ne_u32_e32 vcc_lo, 0, v11
	v_lshrrev_b32_e32 v15, 8, v12
	v_lshrrev_b32_e32 v12, 16, v12
	v_and_b32_e32 v21, 7, v13
	v_cndmask_b32_e64 v11, 0, 1, vcc_lo
	v_cmp_eq_u32_e32 vcc_lo, 0x40f, v9
	v_lshrrev_b32_e32 v13, 2, v13
	v_cmp_eq_u32_e64 s0, 3, v21
	v_and_or_b32 v11, 0xffe, v15, v11
	v_sub_nc_u32_e32 v15, 0x3f1, v20
	v_cndmask_b32_e32 v9, v16, v1, vcc_lo
	v_cmp_lt_i32_e32 vcc_lo, 5, v21
	v_lshrrev_b32_e32 v16, 16, v2
	v_mul_f64 v[1:2], v[7:8], s[6:7]
	v_or_b32_e32 v7, 0x1000, v11
	v_med3_i32 v8, v15, 0, 13
	s_or_b32 vcc_lo, s0, vcc_lo
	v_and_or_b32 v9, 0x8000, v16, v9
	v_add_co_ci_u32_e32 v13, vcc_lo, 0, v13, vcc_lo
	v_lshrrev_b32_e32 v16, v8, v7
	v_cmp_ne_u32_e32 vcc_lo, 0, v5
	v_and_b32_e32 v15, 0xffff, v18
	v_lshrrev_b32_e32 v18, 16, v6
	v_lshlrev_b32_e32 v8, v8, v16
	v_cndmask_b32_e64 v5, 0, 1, vcc_lo
	v_cmp_gt_i32_e32 vcc_lo, 31, v19
	v_lshl_or_b32 v15, v9, 16, v15
	v_lshl_or_b32 v5, v5, 9, 0x7c00
	v_cndmask_b32_e32 v9, 0x7c00, v13, vcc_lo
	v_cmp_ne_u32_e32 vcc_lo, v8, v7
	v_add_nc_u32_e32 v13, 0xfffffc10, v20
	v_and_or_b32 v1, 0x1ff, v2, v1
	v_bfe_u32 v17, v2, 20, 11
	v_cndmask_b32_e64 v7, 0, 1, vcc_lo
	v_cmp_eq_u32_e32 vcc_lo, 0x40f, v19
	v_cndmask_b32_e32 v8, v9, v5, vcc_lo
	v_cmp_ne_u32_e32 vcc_lo, 0, v1
	v_or_b32_e32 v5, v16, v7
	v_lshl_or_b32 v7, v13, 12, v11
	v_lshrrev_b32_e32 v16, 8, v2
	v_cvt_f64_f32_e32 v[0:1], v0
	v_cndmask_b32_e64 v9, 0, 1, vcc_lo
	v_cmp_gt_i32_e32 vcc_lo, 1, v13
	v_and_or_b32 v18, 0x8000, v18, v8
	v_lshrrev_b32_e32 v2, 16, v2
	v_and_or_b32 v16, 0xffe, v16, v9
	v_cndmask_b32_e32 v7, v7, v5, vcc_lo
	v_sub_nc_u32_e32 v5, 0x3f1, v17
	v_lshrrev_b32_e32 v9, 16, v10
	v_add_nc_u32_e32 v17, 0xfffffc10, v17
	v_or_b32_e32 v20, 0x1000, v16
	v_and_b32_e32 v19, 7, v7
	v_med3_i32 v21, v5, 0, 13
	v_mul_f16_sdwa v22, v49, v9 dst_sel:DWORD dst_unused:UNUSED_PAD src0_sel:WORD_1 src1_sel:DWORD
	v_add_co_u32 v5, vcc_lo, v3, s4
	v_add_co_ci_u32_e32 v6, vcc_lo, s5, v4, vcc_lo
	v_lshrrev_b32_e32 v23, v21, v20
	v_fmac_f16_e32 v22, v49, v10
	v_cmp_lt_i32_e32 vcc_lo, 5, v19
	v_cmp_eq_u32_e64 s0, 3, v19
	v_lshrrev_b32_e32 v7, 2, v7
	v_lshlrev_b32_e32 v19, v21, v23
	v_cvt_f32_f16_e32 v8, v22
	v_mul_f64 v[0:1], v[0:1], s[6:7]
	s_or_b32 vcc_lo, s0, vcc_lo
	v_mul_f16_sdwa v10, v49, v10 dst_sel:DWORD dst_unused:UNUSED_PAD src0_sel:WORD_1 src1_sel:DWORD
	v_add_co_ci_u32_e32 v21, vcc_lo, 0, v7, vcc_lo
	v_cmp_ne_u32_e32 vcc_lo, v19, v20
	v_cvt_f64_f32_e32 v[7:8], v8
	v_lshl_or_b32 v20, v17, 12, v16
	v_fma_f16 v9, v49, v9, -v10
	v_cndmask_b32_e64 v19, 0, 1, vcc_lo
	v_cmp_ne_u32_e32 vcc_lo, 0, v11
	v_cvt_f32_f16_e32 v9, v9
	v_or_b32_e32 v19, v23, v19
	v_cndmask_b32_e64 v11, 0, 1, vcc_lo
	v_cmp_gt_i32_e32 vcc_lo, 31, v13
	v_lshl_or_b32 v11, v11, 9, 0x7c00
	v_cndmask_b32_e32 v10, 0x7c00, v21, vcc_lo
	v_cmp_gt_i32_e32 vcc_lo, 1, v17
	v_and_or_b32 v0, 0x1ff, v1, v0
	v_bfe_u32 v21, v1, 20, 11
	v_cndmask_b32_e32 v19, v20, v19, vcc_lo
	v_cmp_eq_u32_e32 vcc_lo, 0x40f, v13
	v_mul_f64 v[7:8], v[7:8], s[6:7]
	v_lshrrev_b32_e32 v20, 8, v1
	v_lshrrev_b32_e32 v1, 16, v1
	v_and_b32_e32 v13, 7, v19
	v_cndmask_b32_e32 v11, v10, v11, vcc_lo
	v_cvt_f64_f32_e32 v[9:10], v9
	v_cmp_ne_u32_e32 vcc_lo, 0, v0
	v_cmp_eq_u32_e64 s0, 3, v13
	v_and_or_b32 v11, 0x8000, v12, v11
	v_and_b32_e32 v12, 0xffff, v18
	v_cndmask_b32_e64 v0, 0, 1, vcc_lo
	v_cmp_lt_i32_e32 vcc_lo, 5, v13
	v_sub_nc_u32_e32 v18, 0x3f1, v21
	v_lshl_or_b32 v11, v11, 16, v12
	v_lshrrev_b32_e32 v12, 2, v19
	v_and_or_b32 v0, 0xffe, v20, v0
	s_or_b32 vcc_lo, s0, vcc_lo
	v_med3_i32 v18, v18, 0, 13
	v_add_co_ci_u32_e32 v12, vcc_lo, 0, v12, vcc_lo
	v_or_b32_e32 v13, 0x1000, v0
	v_cmp_ne_u32_e32 vcc_lo, 0, v16
	v_and_or_b32 v7, 0x1ff, v8, v7
	v_lshrrev_b32_e32 v20, 8, v8
	v_mul_f64 v[9:10], v[9:10], s[6:7]
	v_lshrrev_b32_e32 v19, v18, v13
	v_cndmask_b32_e64 v16, 0, 1, vcc_lo
	v_cmp_gt_i32_e32 vcc_lo, 31, v17
	v_bfe_u32 v22, v8, 20, 11
	v_lshrrev_b32_e32 v8, 16, v8
	v_lshlrev_b32_e32 v18, v18, v19
	v_lshl_or_b32 v16, v16, 9, 0x7c00
	v_cndmask_b32_e32 v12, 0x7c00, v12, vcc_lo
	v_cmp_ne_u32_e32 vcc_lo, 0, v7
	v_cndmask_b32_e64 v7, 0, 1, vcc_lo
	v_cmp_ne_u32_e32 vcc_lo, v18, v13
	v_add_nc_u32_e32 v18, 0xfffffc10, v21
	v_and_or_b32 v7, 0xffe, v20, v7
	v_cndmask_b32_e64 v13, 0, 1, vcc_lo
	v_sub_nc_u32_e32 v20, 0x3f1, v22
	v_cmp_eq_u32_e32 vcc_lo, 0x40f, v17
	v_and_or_b32 v9, 0x1ff, v10, v9
	v_or_b32_e32 v17, 0x1000, v7
	v_or_b32_e32 v13, v19, v13
	v_med3_i32 v19, v20, 0, 13
	v_cndmask_b32_e32 v12, v12, v16, vcc_lo
	v_lshl_or_b32 v16, v18, 12, v0
	v_cmp_gt_i32_e32 vcc_lo, 1, v18
	v_lshrrev_b32_e32 v20, 8, v10
	v_bfe_u32 v21, v10, 20, 11
	v_and_or_b32 v2, 0x8000, v2, v12
	v_cndmask_b32_e32 v13, v16, v13, vcc_lo
	v_lshrrev_b32_e32 v16, v19, v17
	v_cmp_ne_u32_e32 vcc_lo, 0, v9
	v_sub_nc_u32_e32 v12, 0x3f1, v21
	v_and_b32_e32 v2, 0xffff, v2
	v_and_b32_e32 v23, 7, v13
	v_lshlrev_b32_e32 v19, v19, v16
	v_cndmask_b32_e64 v9, 0, 1, vcc_lo
	v_lshrrev_b32_e32 v13, 2, v13
	v_med3_i32 v12, v12, 0, 13
	v_cmp_lt_i32_e32 vcc_lo, 5, v23
	v_cmp_ne_u32_e64 s0, v19, v17
	v_and_or_b32 v9, 0xffe, v20, v9
	v_add_nc_u32_e32 v20, 0xfffffc10, v22
	v_cndmask_b32_e64 v17, 0, 1, s0
	v_cmp_eq_u32_e64 s0, 3, v23
	v_or_b32_e32 v19, 0x1000, v9
	v_lshl_or_b32 v22, v20, 12, v7
	v_or_b32_e32 v16, v16, v17
	s_or_b32 vcc_lo, s0, vcc_lo
	v_lshrrev_b32_e32 v17, v12, v19
	v_add_co_ci_u32_e32 v13, vcc_lo, 0, v13, vcc_lo
	v_cmp_gt_i32_e32 vcc_lo, 1, v20
	v_lshlrev_b32_e32 v12, v12, v17
	v_cndmask_b32_e32 v16, v22, v16, vcc_lo
	v_cmp_ne_u32_e32 vcc_lo, 0, v0
	v_cndmask_b32_e64 v0, 0, 1, vcc_lo
	v_cmp_ne_u32_e32 vcc_lo, v12, v19
	v_add_nc_u32_e32 v19, 0xfffffc10, v21
	v_and_b32_e32 v21, 7, v16
	v_lshl_or_b32 v0, v0, 9, 0x7c00
	v_cndmask_b32_e64 v12, 0, 1, vcc_lo
	v_cmp_gt_i32_e32 vcc_lo, 31, v18
	v_cmp_gt_i32_e64 s1, 1, v19
	v_cmp_eq_u32_e64 s0, 3, v21
	v_or_b32_e32 v12, v17, v12
	v_lshl_or_b32 v17, v19, 12, v9
	v_cndmask_b32_e32 v13, 0x7c00, v13, vcc_lo
	v_cmp_lt_i32_e32 vcc_lo, 5, v21
	v_cndmask_b32_e64 v12, v17, v12, s1
	v_cmp_eq_u32_e64 s1, 0x40f, v18
	s_or_b32 vcc_lo, s0, vcc_lo
	v_cndmask_b32_e64 v0, v13, v0, s1
	v_lshrrev_b32_e32 v13, 2, v16
	v_and_b32_e32 v16, 7, v12
	v_lshrrev_b32_e32 v12, 2, v12
	v_cmp_gt_i32_e64 s1, 31, v20
	v_add_co_ci_u32_e32 v13, vcc_lo, 0, v13, vcc_lo
	v_cmp_ne_u32_e32 vcc_lo, 0, v7
	v_cmp_eq_u32_e64 s0, 3, v16
	v_cndmask_b32_e64 v13, 0x7c00, v13, s1
	v_cndmask_b32_e64 v7, 0, 1, vcc_lo
	v_cmp_lt_i32_e32 vcc_lo, 5, v16
	v_lshl_or_b32 v7, v7, 9, 0x7c00
	s_or_b32 vcc_lo, s0, vcc_lo
	v_add_co_ci_u32_e32 v12, vcc_lo, 0, v12, vcc_lo
	v_cmp_ne_u32_e32 vcc_lo, 0, v9
	v_cndmask_b32_e64 v9, 0, 1, vcc_lo
	v_cmp_eq_u32_e32 vcc_lo, 0x40f, v20
	v_lshl_or_b32 v9, v9, 9, 0x7c00
	v_cndmask_b32_e32 v7, v13, v7, vcc_lo
	v_cmp_gt_i32_e32 vcc_lo, 31, v19
	v_and_or_b32 v13, 0x8000, v1, v0
	v_and_or_b32 v7, 0x8000, v8, v7
	v_cndmask_b32_e32 v12, 0x7c00, v12, vcc_lo
	v_cmp_eq_u32_e32 vcc_lo, 0x40f, v19
	v_lshl_or_b32 v2, v13, 16, v2
	v_cndmask_b32_e32 v8, v12, v9, vcc_lo
	v_lshrrev_b32_e32 v9, 16, v10
	v_add_co_u32 v0, vcc_lo, v5, s3
	v_add_co_ci_u32_e32 v1, vcc_lo, s2, v6, vcc_lo
	v_and_or_b32 v9, 0x8000, v9, v8
	v_and_b32_e32 v10, 0xffff, v7
	v_add_co_u32 v7, vcc_lo, v0, s4
	v_add_co_ci_u32_e32 v8, vcc_lo, s5, v1, vcc_lo
	v_lshl_or_b32 v12, v9, 16, v10
	v_add_co_u32 v9, vcc_lo, v7, s3
	v_add_co_ci_u32_e32 v10, vcc_lo, s2, v8, vcc_lo
	global_store_dword v[3:4], v14, off
	global_store_dword v[5:6], v15, off
	;; [unrolled: 1-line block ×5, first 2 shown]
.LBB0_26:
	s_endpgm
	.section	.rodata,"a",@progbits
	.p2align	6, 0x0
	.amdhsa_kernel bluestein_single_fwd_len1170_dim1_half_op_CI_CI
		.amdhsa_group_segment_fixed_size 4680
		.amdhsa_private_segment_fixed_size 0
		.amdhsa_kernarg_size 104
		.amdhsa_user_sgpr_count 6
		.amdhsa_user_sgpr_private_segment_buffer 1
		.amdhsa_user_sgpr_dispatch_ptr 0
		.amdhsa_user_sgpr_queue_ptr 0
		.amdhsa_user_sgpr_kernarg_segment_ptr 1
		.amdhsa_user_sgpr_dispatch_id 0
		.amdhsa_user_sgpr_flat_scratch_init 0
		.amdhsa_user_sgpr_private_segment_size 0
		.amdhsa_wavefront_size32 1
		.amdhsa_uses_dynamic_stack 0
		.amdhsa_system_sgpr_private_segment_wavefront_offset 0
		.amdhsa_system_sgpr_workgroup_id_x 1
		.amdhsa_system_sgpr_workgroup_id_y 0
		.amdhsa_system_sgpr_workgroup_id_z 0
		.amdhsa_system_sgpr_workgroup_info 0
		.amdhsa_system_vgpr_workitem_id 0
		.amdhsa_next_free_vgpr 201
		.amdhsa_next_free_sgpr 20
		.amdhsa_reserve_vcc 1
		.amdhsa_reserve_flat_scratch 0
		.amdhsa_float_round_mode_32 0
		.amdhsa_float_round_mode_16_64 0
		.amdhsa_float_denorm_mode_32 3
		.amdhsa_float_denorm_mode_16_64 3
		.amdhsa_dx10_clamp 1
		.amdhsa_ieee_mode 1
		.amdhsa_fp16_overflow 0
		.amdhsa_workgroup_processor_mode 1
		.amdhsa_memory_ordered 1
		.amdhsa_forward_progress 0
		.amdhsa_shared_vgpr_count 0
		.amdhsa_exception_fp_ieee_invalid_op 0
		.amdhsa_exception_fp_denorm_src 0
		.amdhsa_exception_fp_ieee_div_zero 0
		.amdhsa_exception_fp_ieee_overflow 0
		.amdhsa_exception_fp_ieee_underflow 0
		.amdhsa_exception_fp_ieee_inexact 0
		.amdhsa_exception_int_div_zero 0
	.end_amdhsa_kernel
	.text
.Lfunc_end0:
	.size	bluestein_single_fwd_len1170_dim1_half_op_CI_CI, .Lfunc_end0-bluestein_single_fwd_len1170_dim1_half_op_CI_CI
                                        ; -- End function
	.section	.AMDGPU.csdata,"",@progbits
; Kernel info:
; codeLenInByte = 21800
; NumSgprs: 22
; NumVgprs: 201
; ScratchSize: 0
; MemoryBound: 0
; FloatMode: 240
; IeeeMode: 1
; LDSByteSize: 4680 bytes/workgroup (compile time only)
; SGPRBlocks: 2
; VGPRBlocks: 25
; NumSGPRsForWavesPerEU: 22
; NumVGPRsForWavesPerEU: 201
; Occupancy: 4
; WaveLimiterHint : 1
; COMPUTE_PGM_RSRC2:SCRATCH_EN: 0
; COMPUTE_PGM_RSRC2:USER_SGPR: 6
; COMPUTE_PGM_RSRC2:TRAP_HANDLER: 0
; COMPUTE_PGM_RSRC2:TGID_X_EN: 1
; COMPUTE_PGM_RSRC2:TGID_Y_EN: 0
; COMPUTE_PGM_RSRC2:TGID_Z_EN: 0
; COMPUTE_PGM_RSRC2:TIDIG_COMP_CNT: 0
	.text
	.p2alignl 6, 3214868480
	.fill 48, 4, 3214868480
	.type	__hip_cuid_669ba1d305924f5d,@object ; @__hip_cuid_669ba1d305924f5d
	.section	.bss,"aw",@nobits
	.globl	__hip_cuid_669ba1d305924f5d
__hip_cuid_669ba1d305924f5d:
	.byte	0                               ; 0x0
	.size	__hip_cuid_669ba1d305924f5d, 1

	.ident	"AMD clang version 19.0.0git (https://github.com/RadeonOpenCompute/llvm-project roc-6.4.0 25133 c7fe45cf4b819c5991fe208aaa96edf142730f1d)"
	.section	".note.GNU-stack","",@progbits
	.addrsig
	.addrsig_sym __hip_cuid_669ba1d305924f5d
	.amdgpu_metadata
---
amdhsa.kernels:
  - .args:
      - .actual_access:  read_only
        .address_space:  global
        .offset:         0
        .size:           8
        .value_kind:     global_buffer
      - .actual_access:  read_only
        .address_space:  global
        .offset:         8
        .size:           8
        .value_kind:     global_buffer
      - .actual_access:  read_only
        .address_space:  global
        .offset:         16
        .size:           8
        .value_kind:     global_buffer
      - .actual_access:  read_only
        .address_space:  global
        .offset:         24
        .size:           8
        .value_kind:     global_buffer
      - .actual_access:  read_only
        .address_space:  global
        .offset:         32
        .size:           8
        .value_kind:     global_buffer
      - .offset:         40
        .size:           8
        .value_kind:     by_value
      - .address_space:  global
        .offset:         48
        .size:           8
        .value_kind:     global_buffer
      - .address_space:  global
        .offset:         56
        .size:           8
        .value_kind:     global_buffer
      - .address_space:  global
        .offset:         64
        .size:           8
        .value_kind:     global_buffer
      - .address_space:  global
        .offset:         72
        .size:           8
        .value_kind:     global_buffer
      - .offset:         80
        .size:           4
        .value_kind:     by_value
      - .address_space:  global
        .offset:         88
        .size:           8
        .value_kind:     global_buffer
      - .address_space:  global
        .offset:         96
        .size:           8
        .value_kind:     global_buffer
    .group_segment_fixed_size: 4680
    .kernarg_segment_align: 8
    .kernarg_segment_size: 104
    .language:       OpenCL C
    .language_version:
      - 2
      - 0
    .max_flat_workgroup_size: 117
    .name:           bluestein_single_fwd_len1170_dim1_half_op_CI_CI
    .private_segment_fixed_size: 0
    .sgpr_count:     22
    .sgpr_spill_count: 0
    .symbol:         bluestein_single_fwd_len1170_dim1_half_op_CI_CI.kd
    .uniform_work_group_size: 1
    .uses_dynamic_stack: false
    .vgpr_count:     201
    .vgpr_spill_count: 0
    .wavefront_size: 32
    .workgroup_processor_mode: 1
amdhsa.target:   amdgcn-amd-amdhsa--gfx1030
amdhsa.version:
  - 1
  - 2
...

	.end_amdgpu_metadata
